;; amdgpu-corpus repo=ROCm/Tensile kind=harvested arch=n/a opt=n/a

/******************************************/
/* Function Prefix                        */
/******************************************/



/******************************************/
/* Begin Kernel                           */
/******************************************/

// Component.Signature.SignatureDefault
.amdgcn_target "amdgcn-amd-amdhsa--gfx942"
.text
.protected Cijk_Alik_Bljk_HHS_BH_MT224x256x64_MI16x16x16x1_SN_1LDSB1_APM1_AF0EM1_AF1EM1_AMAS0_ASGT_ASLT_ASEM1_BL1_BS1_CLR0_DTVA0_DTVB0_ETSP_EPS1_ELFLR4_EMLL0_FSSC10_FL0_GLVWA2_GLVWB2_GRCGA1_GRCGB1_GRVWn1_GSU1_GSUASB_GLS0_IU1_K1_LBSPPA128_LBSPPB128_LPA4_LPB4_LRVW4_MIAV0_MKFGSU256_NTA0_NTB0_NTC3_NTD3_NEPBS0_NLCA1_NLCB1_ONLL1_PK0_PGR2_PLR5_PKA0_SIA3_SS1_SU4_SUM0_SUS256_SPO1_SRVW0_SSO6_SVW1_TSGRA0_TSGRB0_TT7_128_TLDS1_UMLDSA1_UMLDSB1_USFGROn1_VAW1_VSn1_VW1_VWB1_VFLRP0_WSGRA0_WSGRB0_WG32_8_1_WGMn32
.globl Cijk_Alik_Bljk_HHS_BH_MT224x256x64_MI16x16x16x1_SN_1LDSB1_APM1_AF0EM1_AF1EM1_AMAS0_ASGT_ASLT_ASEM1_BL1_BS1_CLR0_DTVA0_DTVB0_ETSP_EPS1_ELFLR4_EMLL0_FSSC10_FL0_GLVWA2_GLVWB2_GRCGA1_GRCGB1_GRVWn1_GSU1_GSUASB_GLS0_IU1_K1_LBSPPA128_LBSPPB128_LPA4_LPB4_LRVW4_MIAV0_MKFGSU256_NTA0_NTB0_NTC3_NTD3_NEPBS0_NLCA1_NLCB1_ONLL1_PK0_PGR2_PLR5_PKA0_SIA3_SS1_SU4_SUM0_SUS256_SPO1_SRVW0_SSO6_SVW1_TSGRA0_TSGRB0_TT7_128_TLDS1_UMLDSA1_UMLDSB1_USFGROn1_VAW1_VSn1_VW1_VWB1_VFLRP0_WSGRA0_WSGRB0_WG32_8_1_WGMn32
.p2align 8
.type Cijk_Alik_Bljk_HHS_BH_MT224x256x64_MI16x16x16x1_SN_1LDSB1_APM1_AF0EM1_AF1EM1_AMAS0_ASGT_ASLT_ASEM1_BL1_BS1_CLR0_DTVA0_DTVB0_ETSP_EPS1_ELFLR4_EMLL0_FSSC10_FL0_GLVWA2_GLVWB2_GRCGA1_GRCGB1_GRVWn1_GSU1_GSUASB_GLS0_IU1_K1_LBSPPA128_LBSPPB128_LPA4_LPB4_LRVW4_MIAV0_MKFGSU256_NTA0_NTB0_NTC3_NTD3_NEPBS0_NLCA1_NLCB1_ONLL1_PK0_PGR2_PLR5_PKA0_SIA3_SS1_SU4_SUM0_SUS256_SPO1_SRVW0_SSO6_SVW1_TSGRA0_TSGRB0_TT7_128_TLDS1_UMLDSA1_UMLDSB1_USFGROn1_VAW1_VSn1_VW1_VWB1_VFLRP0_WSGRA0_WSGRB0_WG32_8_1_WGMn32,@function
.section .rodata,#alloc
.p2align 6
.amdhsa_kernel Cijk_Alik_Bljk_HHS_BH_MT224x256x64_MI16x16x16x1_SN_1LDSB1_APM1_AF0EM1_AF1EM1_AMAS0_ASGT_ASLT_ASEM1_BL1_BS1_CLR0_DTVA0_DTVB0_ETSP_EPS1_ELFLR4_EMLL0_FSSC10_FL0_GLVWA2_GLVWB2_GRCGA1_GRCGB1_GRVWn1_GSU1_GSUASB_GLS0_IU1_K1_LBSPPA128_LBSPPB128_LPA4_LPB4_LRVW4_MIAV0_MKFGSU256_NTA0_NTB0_NTC3_NTD3_NEPBS0_NLCA1_NLCB1_ONLL1_PK0_PGR2_PLR5_PKA0_SIA3_SS1_SU4_SUM0_SUS256_SPO1_SRVW0_SSO6_SVW1_TSGRA0_TSGRB0_TT7_128_TLDS1_UMLDSA1_UMLDSB1_USFGROn1_VAW1_VSn1_VW1_VWB1_VFLRP0_WSGRA0_WSGRB0_WG32_8_1_WGMn32
  .amdhsa_user_sgpr_kernarg_segment_ptr 1
  .amdhsa_user_sgpr_kernarg_preload_offset 0
  .amdhsa_user_sgpr_kernarg_preload_length 0
  .amdhsa_user_sgpr_count 2
  .amdhsa_accum_offset 256 // accvgpr offset
  .amdhsa_next_free_vgpr 480 // vgprs
  .amdhsa_next_free_sgpr 63 // sgprs
  .amdhsa_group_segment_fixed_size 65280 // lds bytes
  .amdhsa_private_segment_fixed_size 0
  .amdhsa_system_sgpr_workgroup_id_x 1
  .amdhsa_system_sgpr_workgroup_id_y 1
  .amdhsa_system_sgpr_workgroup_id_z 1
  .amdhsa_system_vgpr_workitem_id 0
  .amdhsa_float_denorm_mode_32 3
  .amdhsa_float_denorm_mode_16_64 3
.end_amdhsa_kernel
.text

/******************************************/
/* Optimizations and Config:              */
/******************************************/
/* ThreadTile= 28 x 8 */
/* SubGroup= 8 x 32 */
/* VectorWidthA=1 */
/* VectorWidthB=1 */
/* GlobalLoadVectorWidthA=2, GlobalLoadVectorWidthB=2 */
/* DirectToLdsA=False */
/* DirectToLdsB=False */
/* UseSgprForGRO=0 */
.amdgpu_metadata
---
amdhsa.version:
  - 1
  - 1
amdhsa.target: amdgcn-amd-amdhsa--gfx942
amdhsa.kernels:
  - .name: Cijk_Alik_Bljk_HHS_BH_MT224x256x64_MI16x16x16x1_SN_1LDSB1_APM1_AF0EM1_AF1EM1_AMAS0_ASGT_ASLT_ASEM1_BL1_BS1_CLR0_DTVA0_DTVB0_ETSP_EPS1_ELFLR4_EMLL0_FSSC10_FL0_GLVWA2_GLVWB2_GRCGA1_GRCGB1_GRVWn1_GSU1_GSUASB_GLS0_IU1_K1_LBSPPA128_LBSPPB128_LPA4_LPB4_LRVW4_MIAV0_MKFGSU256_NTA0_NTB0_NTC3_NTD3_NEPBS0_NLCA1_NLCB1_ONLL1_PK0_PGR2_PLR5_PKA0_SIA3_SS1_SU4_SUM0_SUS256_SPO1_SRVW0_SSO6_SVW1_TSGRA0_TSGRB0_TT7_128_TLDS1_UMLDSA1_UMLDSB1_USFGROn1_VAW1_VSn1_VW1_VWB1_VFLRP0_WSGRA0_WSGRB0_WG32_8_1_WGMn32
    .symbol: 'Cijk_Alik_Bljk_HHS_BH_MT224x256x64_MI16x16x16x1_SN_1LDSB1_APM1_AF0EM1_AF1EM1_AMAS0_ASGT_ASLT_ASEM1_BL1_BS1_CLR0_DTVA0_DTVB0_ETSP_EPS1_ELFLR4_EMLL0_FSSC10_FL0_GLVWA2_GLVWB2_GRCGA1_GRCGB1_GRVWn1_GSU1_GSUASB_GLS0_IU1_K1_LBSPPA128_LBSPPB128_LPA4_LPB4_LRVW4_MIAV0_MKFGSU256_NTA0_NTB0_NTC3_NTD3_NEPBS0_NLCA1_NLCB1_ONLL1_PK0_PGR2_PLR5_PKA0_SIA3_SS1_SU4_SUM0_SUS256_SPO1_SRVW0_SSO6_SVW1_TSGRA0_TSGRB0_TT7_128_TLDS1_UMLDSA1_UMLDSB1_USFGROn1_VAW1_VSn1_VW1_VWB1_VFLRP0_WSGRA0_WSGRB0_WG32_8_1_WGMn32.kd'
    .language:                   OpenCL C
    .language_version:
      - 2
      - 0
    .args:
      - .name:            Tensor2dSizeA
        .size:            8
        .offset:          0
        .value_kind:      by_value
        .value_type:      u64
      - .name:            Tensor2dSizeB
        .size:            8
        .offset:          8
        .value_kind:      by_value
        .value_type:      u64
      - .name:            AddressD
        .size:            8
        .offset:          16
        .value_kind:      by_value
        .value_type:      u64
      - .name:            AddressC
        .size:            8
        .offset:          24
        .value_kind:      by_value
        .value_type:      u64
      - .name:            AddressA
        .size:            8
        .offset:          32
        .value_kind:      by_value
        .value_type:      u64
      - .name:            AddressB
        .size:            8
        .offset:          40
        .value_kind:      by_value
        .value_type:      u64
      - .name:            Alpha
        .size:            4
        .offset:          48
        .value_kind:      by_value
        .value_type:      u32
      - .name:            Beta
        .size:            4
        .offset:          52
        .value_kind:      by_value
        .value_type:      u32
      - .name:            StridesD
        .size:            8
        .offset:          56
        .value_kind:      by_value
        .value_type:      u64
      - .name:            StridesC
        .size:            8
        .offset:          64
        .value_kind:      by_value
        .value_type:      u64
      - .name:            StridesA
        .size:            8
        .offset:          72
        .value_kind:      by_value
        .value_type:      u64
      - .name:            StridesB
        .size:            8
        .offset:          80
        .value_kind:      by_value
        .value_type:      u64
      - .name:            SizesFree
        .size:            12
        .offset:          88
        .value_kind:      by_value
        .value_type:      u96
      - .name:            SizesSum
        .size:            4
        .offset:          100
        .value_kind:      by_value
        .value_type:      u32
      - .name:            OrigStaggerUIter
        .size:            4
        .offset:          104
        .value_kind:      by_value
        .value_type:      u32
      - .name:            NumWorkGroups0
        .size:            4
        .offset:          108
        .value_kind:      by_value
        .value_type:      u32
      - .name:            NumWorkGroups1
        .size:            4
        .offset:          112
        .value_kind:      by_value
        .value_type:      u32
      - .name:            NumFullBlocks
        .size:            4
        .offset:          116
        .value_kind:      by_value
        .value_type:      u32
      - .name:            WgmRemainder1
        .size:            4
        .offset:          120
        .value_kind:      by_value
        .value_type:      u32
      - .name:            MagicNumberWgmRemainder1
        .size:            4
        .offset:          124
        .value_kind:      by_value
        .value_type:      u32
    .group_segment_fixed_size:   65280
    .kernarg_segment_align:      8
    .kernarg_segment_size:       128
    .max_flat_workgroup_size:    256
    .private_segment_fixed_size: 0
    .sgpr_count:                 63
    .sgpr_spill_count:           0
    .vgpr_count:                 256
    .vgpr_spill_count:           0
    .wavefront_size:             64
...
.end_amdgpu_metadata
Cijk_Alik_Bljk_HHS_BH_MT224x256x64_MI16x16x16x1_SN_1LDSB1_APM1_AF0EM1_AF1EM1_AMAS0_ASGT_ASLT_ASEM1_BL1_BS1_CLR0_DTVA0_DTVB0_ETSP_EPS1_ELFLR4_EMLL0_FSSC10_FL0_GLVWA2_GLVWB2_GRCGA1_GRCGB1_GRVWn1_GSU1_GSUASB_GLS0_IU1_K1_LBSPPA128_LBSPPB128_LPA4_LPB4_LRVW4_MIAV0_MKFGSU256_NTA0_NTB0_NTC3_NTD3_NEPBS0_NLCA1_NLCB1_ONLL1_PK0_PGR2_PLR5_PKA0_SIA3_SS1_SU4_SUM0_SUS256_SPO1_SRVW0_SSO6_SVW1_TSGRA0_TSGRB0_TT7_128_TLDS1_UMLDSA1_UMLDSB1_USFGROn1_VAW1_VSn1_VW1_VWB1_VFLRP0_WSGRA0_WSGRB0_WG32_8_1_WGMn32:

/******************************************/
/* Asm syntax workarounds                 */
/******************************************/
.macro _v_add_co_u32 dst:req, cc:req, src0:req, src1:req, dpp=
   v_add_co_u32 \dst, \cc, \src0, \src1 \dpp
.endm

.macro _v_add_u32 dst:req, src0:req, src1:req, dpp=
   v_add_u32 \dst, \src0, \src1 \dpp
.endm

.macro _v_add_i32 dst:req, src0:req, src1:req, dpp=
   v_add_i32 \dst, \src0, \src1 \dpp
.endm

.macro _v_addc_co_u32 dst:req, ccOut:req, src0:req, ccIn:req, src1:req, dpp=
   v_addc_co_u32 \dst, \ccOut, \src0, \ccIn, \src1 \dpp
.endm

.macro _v_sub_co_u32 dst:req, cc:req, src0:req, src1:req, dpp=
   v_sub_co_u32 \dst, \cc, \src0, \src1 \dpp
.endm

.macro _v_sub_u32 dst:req, src0:req, src1:req, dpp=
   v_sub_u32 \dst, \src0, \src1 \dpp
.endm

.macro _v_sub_i32 dst:req, src0:req, src1:req, dpp=
   v_sub_i32 \dst, \src0, \src1 \dpp
.endm

.macro _v_add_lshl_u32 dst:req, src0:req, src1:req, shiftCnt:req
    v_add_lshl_u32 \dst, \src0, \src1, \shiftCnt
.endm

.macro _v_lshl_add_u32 dst:req, src0:req, src1:req, shiftCnt:req
    v_lshl_add_u32 \dst, \src0, \src1, \shiftCnt
.endm

.macro _v_lshl_or_b32 dst:req, src0:req, shiftCnt:req, src1:req
    v_lshl_or_b32 \dst, \src0, \shiftCnt, \src1
.endm

.macro _v_dot2acc_f32_f16 dst, src0, src1
v_dot2c_f32_f16 \dst, \src0, \src1
.endm

.macro _v_cmpx_lt_i16 dst, src0, src1=
   v_cmpx_lt_i16 \dst, \src0, \src1 
.endm

.macro _v_cmpx_lt_i32 dst, src0, src1=
   v_cmpx_lt_i32 \dst, \src0, \src1 
.endm

.macro _v_cmpx_lt_i64 dst, src0, src1=
   v_cmpx_lt_i64 \dst, \src0, \src1 
.endm

.macro _v_cmpx_lt_u16 dst, src0, src1=
   v_cmpx_lt_u16 \dst, \src0, \src1 
.endm

.macro _v_cmpx_lt_u32 dst, src0, src1=
   v_cmpx_lt_u32 \dst, \src0, \src1 
.endm

.macro _v_cmpx_lt_u64 dst, src0, src1=
   v_cmpx_lt_u64 \dst, \src0, \src1 
.endm

.macro _v_cmpx_eq_i16 dst, src0, src1=
   v_cmpx_eq_i16 \dst, \src0, \src1 
.endm

.macro _v_cmpx_eq_i32 dst, src0, src1=
   v_cmpx_eq_i32 \dst, \src0, \src1 
.endm

.macro _v_cmpx_eq_i64 dst, src0, src1=
   v_cmpx_eq_i64 \dst, \src0, \src1 
.endm

.macro _v_cmpx_eq_u16 dst, src0, src1=
   v_cmpx_eq_u16 \dst, \src0, \src1 
.endm

.macro _v_cmpx_eq_u32 dst, src0, src1=
   v_cmpx_eq_u32 \dst, \src0, \src1 
.endm

.macro _v_cmpx_eq_u64 dst, src0, src1=
   v_cmpx_eq_u64 \dst, \src0, \src1 
.endm

.macro _v_cmpx_le_i16 dst, src0, src1=
   v_cmpx_le_i16 \dst, \src0, \src1 
.endm

.macro _v_cmpx_le_i32 dst, src0, src1=
   v_cmpx_le_i32 \dst, \src0, \src1 
.endm

.macro _v_cmpx_le_i64 dst, src0, src1=
   v_cmpx_le_i64 \dst, \src0, \src1 
.endm

.macro _v_cmpx_le_u16 dst, src0, src1=
   v_cmpx_le_u16 \dst, \src0, \src1 
.endm

.macro _v_cmpx_le_u32 dst, src0, src1=
   v_cmpx_le_u32 \dst, \src0, \src1 
.endm

.macro _v_cmpx_le_u64 dst, src0, src1=
   v_cmpx_le_u64 \dst, \src0, \src1 
.endm

.macro _v_cmpx_gt_i16 dst, src0, src1=
   v_cmpx_gt_i16 \dst, \src0, \src1 
.endm

.macro _v_cmpx_gt_i32 dst, src0, src1=
   v_cmpx_gt_i32 \dst, \src0, \src1 
.endm

.macro _v_cmpx_gt_i64 dst, src0, src1=
   v_cmpx_gt_i64 \dst, \src0, \src1 
.endm

.macro _v_cmpx_gt_u16 dst, src0, src1=
   v_cmpx_gt_u16 \dst, \src0, \src1 
.endm

.macro _v_cmpx_gt_u32 dst, src0, src1=
   v_cmpx_gt_u32 \dst, \src0, \src1 
.endm

.macro _v_cmpx_gt_u64 dst, src0, src1=
   v_cmpx_gt_u64 \dst, \src0, \src1 
.endm

.macro _v_cmpx_ne_i16 dst, src0, src1=
   v_cmpx_ne_i16 \dst, \src0, \src1 
.endm

.macro _v_cmpx_ne_i32 dst, src0, src1=
   v_cmpx_ne_i32 \dst, \src0, \src1 
.endm

.macro _v_cmpx_ne_i64 dst, src0, src1=
   v_cmpx_ne_i64 \dst, \src0, \src1 
.endm

.macro _v_cmpx_ne_u16 dst, src0, src1=
   v_cmpx_ne_u16 \dst, \src0, \src1 
.endm

.macro _v_cmpx_ne_u32 dst, src0, src1=
   v_cmpx_ne_u32 \dst, \src0, \src1 
.endm

.macro _v_cmpx_ne_u64 dst, src0, src1=
   v_cmpx_ne_u64 \dst, \src0, \src1 
.endm

.macro _v_cmpx_lg_i16 dst, src0, src1=
   v_cmpx_lg_i16 \dst, \src0, \src1 
.endm

.macro _v_cmpx_lg_i32 dst, src0, src1=
   v_cmpx_lg_i32 \dst, \src0, \src1 
.endm

.macro _v_cmpx_lg_i64 dst, src0, src1=
   v_cmpx_lg_i64 \dst, \src0, \src1 
.endm

.macro _v_cmpx_lg_u16 dst, src0, src1=
   v_cmpx_lg_u16 \dst, \src0, \src1 
.endm

.macro _v_cmpx_lg_u32 dst, src0, src1=
   v_cmpx_lg_u32 \dst, \src0, \src1 
.endm

.macro _v_cmpx_lg_u64 dst, src0, src1=
   v_cmpx_lg_u64 \dst, \src0, \src1 
.endm

.macro _v_cmpx_ge_i16 dst, src0, src1=
   v_cmpx_ge_i16 \dst, \src0, \src1 
.endm

.macro _v_cmpx_ge_i32 dst, src0, src1=
   v_cmpx_ge_i32 \dst, \src0, \src1 
.endm

.macro _v_cmpx_ge_i64 dst, src0, src1=
   v_cmpx_ge_i64 \dst, \src0, \src1 
.endm

.macro _v_cmpx_ge_u16 dst, src0, src1=
   v_cmpx_ge_u16 \dst, \src0, \src1 
.endm

.macro _v_cmpx_ge_u32 dst, src0, src1=
   v_cmpx_ge_u32 \dst, \src0, \src1 
.endm

.macro _v_cmpx_ge_u64 dst, src0, src1=
   v_cmpx_ge_u64 \dst, \src0, \src1 
.endm

.macro _v_cmpx_o_i16 dst, src0, src1=
   v_cmpx_o_i16 \dst, \src0, \src1 
.endm

.macro _v_cmpx_o_i32 dst, src0, src1=
   v_cmpx_o_i32 \dst, \src0, \src1 
.endm

.macro _v_cmpx_o_i64 dst, src0, src1=
   v_cmpx_o_i64 \dst, \src0, \src1 
.endm

.macro _v_cmpx_o_u16 dst, src0, src1=
   v_cmpx_o_u16 \dst, \src0, \src1 
.endm

.macro _v_cmpx_o_u32 dst, src0, src1=
   v_cmpx_o_u32 \dst, \src0, \src1 
.endm

.macro _v_cmpx_o_u64 dst, src0, src1=
   v_cmpx_o_u64 \dst, \src0, \src1 
.endm

.macro _v_cmpx_u_i16 dst, src0, src1=
   v_cmpx_u_i16 \dst, \src0, \src1 
.endm

.macro _v_cmpx_u_i32 dst, src0, src1=
   v_cmpx_u_i32 \dst, \src0, \src1 
.endm

.macro _v_cmpx_u_i64 dst, src0, src1=
   v_cmpx_u_i64 \dst, \src0, \src1 
.endm

.macro _v_cmpx_u_u16 dst, src0, src1=
   v_cmpx_u_u16 \dst, \src0, \src1 
.endm

.macro _v_cmpx_u_u32 dst, src0, src1=
   v_cmpx_u_u32 \dst, \src0, \src1 
.endm

.macro _v_cmpx_u_u64 dst, src0, src1=
   v_cmpx_u_u64 \dst, \src0, \src1 
.endm
.macro _v_mac_f32 c:req, a:req, b:req
    v_fmac_f32 \c, \a, \b
.endmacro

/* scale global load macros */
.macro _s_load_b32 dst base offset
    s_load_dword \dst \base \offset
.endm

.macro _s_load_b64 dst base offset
    s_load_dwordx2 \dst \base \offset
.endm

.macro _s_load_b128 dst base offset
    s_load_dwordx4 \dst \base \offset
.endm

.macro _s_load_b256 dst base offset
    s_load_dwordx8 \dst \base \offset
.endm

.macro _s_load_b512 dst base offset
    s_load_dwordx16 \dst \base \offset
.endm


/* ds operation macros */
.macro _ds_load_u8 dst src offset
    ds_read_u8 \dst \src \offset
.endm

.macro _ds_load_u8_d16_hi dst src offset
    ds_read_u8_d16_hi \dst \src \offset
.endm

.macro _ds_load_u16 dst src offset
    ds_read_u16 \dst \src \offset
.endm

.macro _ds_load_u16_d16_hi dst src offset
    ds_read_u16_d16_hi \dst \src \offset
.endm

.macro _ds_load_b32 dst src offset
    ds_read_b32 \dst \src \offset
.endm

.macro _ds_load_b64 dst src offset
    ds_read_b64 \dst \src \offset
.endm

.macro _ds_load_b128 dst src offset
    ds_read_b128 \dst \src \offset
.endm

.macro _ds_store_b8 dst src offset
    ds_write_b8 \dst \src \offset
.endm

.macro _ds_store_b8_d16_hi dst src offset
    ds_write_b8_d16_hi \dst \src \offset
.endm

.macro _ds_store_b16 dst src offset
    ds_write_b16 \dst \src \offset
.endm

.macro _ds_store_b16_d16_hi dst src offset
    ds_write_b16_d16_hi \dst \src \offset
.endm

.macro _ds_store_b32 dst src offset
    ds_write_b32 \dst \src \offset
.endm

.macro _ds_store_b64 dst src offset
    ds_write_b64 \dst \src \offset
.endm

.macro _ds_store_b128 dst src offset
    ds_write_b128 \dst \src \offset
.endm

.macro _ds_load2_b32 dst src offset1 offset2
    ds_read2_b32 \dst \src \offset1 \offset2
.endm

.macro _ds_load2_b64 dst src offset1 offset2
    ds_read2_b64 \dst \src \offset1 \offset2
.endm

.macro _ds_store2_b32 dst src offset1 offset2
    ds_write2_b32 \dst \src \offset1 \offset2
.endm

.macro _ds_store2_b64 dst src offset1 offset2
    ds_write2_b64 \dst \src \offset1 \offset2
.endm


/* buffer memory operation macros */
.macro _buffer_load_b32 dst voffset base soffset offen ioffset md0 md1 md2
    buffer_load_dword \dst \voffset \base \soffset \offen \ioffset \md0 \md1 \md2
.endm

.macro _buffer_load_b64 dst voffset base soffset offen ioffset md0 md1 md2
    buffer_load_dwordx2 \dst \voffset \base \soffset \offen \ioffset \md0 \md1 \md2
.endm

.macro _buffer_load_b96 dst voffset base soffset offen ioffset md0 md1 md2
    buffer_load_dwordx3 \dst \voffset \base \soffset \offen \ioffset \md0 \md1 \md2
.endm

.macro _buffer_load_b128 dst voffset base soffset offen ioffset md0 md1 md2
    buffer_load_dwordx4 \dst \voffset \base \soffset \offen \ioffset \md0 \md1 \md2
.endm

.macro _buffer_load_d16_b16 dst voffset base soffset offen ioffset md0 md1 md2
    buffer_load_short_d16 \dst \voffset \base \soffset \offen \ioffset \md0 \md1 \md2
.endm

.macro _buffer_load_d16_hi_b16 dst voffset base soffset offen ioffset md0 md1 md2
    buffer_load_short_d16_hi \dst \voffset \base \soffset \offen \ioffset \md0 \md1 \md2
.endm

.macro _buffer_load_d16_u8 dst voffset base soffset offen ioffset md0 md1 md2
    buffer_load_ubyte_d16 \dst \voffset \base \soffset \offen \ioffset \md0 \md1 \md2
.endm

.macro _buffer_load_d16_hi_u8 dst voffset base soffset offen ioffset md0 md1 md2
    buffer_load_ubyte_d16_hi \dst \voffset \base \soffset \offen \ioffset \md0 \md1 \md2
.endm

.macro _buffer_load_u16 dst voffset base soffset offen ioffset md0 md1 md2
    buffer_load_ushort \dst \voffset \base \soffset \offen \ioffset \md0 \md1 \md2
.endm

.macro _buffer_load_b32_dtl voffset base soffset offen ioffset md0 md1 md2
    buffer_load_dword \voffset \base \soffset \offen \ioffset \md0 \md1 \md2
.endm

.macro _buffer_load_b64_dtl voffset base soffset offen ioffset md0 md1 md2
    buffer_load_dwordx2 \voffset \base \soffset \offen \ioffset \md0 \md1 \md2
.endm

.macro _buffer_load_b128_dtl voffset base soffset offen ioffset md0 md1 md2
    buffer_load_dwordx4 \voffset \base \soffset \offen \ioffset \md0 \md1 \md2
.endm

.macro _buffer_load_u16_dtl voffset base soffset offen ioffset md0 md1 md2
    buffer_load_ushort \voffset \base \soffset \offen \ioffset \md0 \md1 \md2
.endm

.macro _buffer_store_b32 src voffset base soffset offen ioffset md0 md1 md2
    buffer_store_dword \src \voffset \base \soffset \offen \ioffset \md0 \md1 \md2
.endm

.macro _buffer_store_b64 src voffset base soffset offen ioffset md0 md1 md2
    buffer_store_dwordx2 \src \voffset \base \soffset \offen \ioffset \md0 \md1 \md2
.endm

.macro _buffer_store_b96 src voffset base soffset offen ioffset md0 md1 md2
    buffer_store_dwordx3 \src \voffset \base \soffset \offen \ioffset \md0 \md1 \md2
.endm

.macro _buffer_store_b128 src voffset base soffset offen ioffset md0 md1 md2
    buffer_store_dwordx4 \src \voffset \base \soffset \offen \ioffset \md0 \md1 \md2
.endm

.macro _buffer_store_b16 src voffset base soffset offen ioffset md0 md1 md2
    buffer_store_short \src \voffset \base \soffset \offen \ioffset \md0 \md1 \md2
.endm

.macro _buffer_store_d16_hi_b16 src voffset base soffset offen ioffset md0 md1 md2
    buffer_store_short_d16_hi \src \voffset \base \soffset \offen \ioffset \md0 \md1 \md2
.endm

.macro _buffer_store_b8 src voffset base soffset offen ioffset md0 md1 md2
    buffer_store_byte \src \voffset \base \soffset \offen \ioffset \md0 \md1 \md2
.endm

.macro _buffer_store_d16_hi_b8 src voffset base soffset offen ioffset md0 md1 md2
    buffer_store_byte_d16_hi \src \voffset \base \soffset \offen \ioffset \md0 \md1 \md2
.endm

.macro _buffer_atomic_cmpswap_b32 dst voffset base soffset offen ioffset md0 md1 md2
    buffer_atomic_cmpswap \dst \voffset \base \soffset \offen \ioffset \md0 \md1 \md2
.endm

.macro _buffer_atomic_cmpswap_b64 dst voffset base soffset offen ioffset md0 md1 md2
    buffer_atomic_cmpswap_x2 \dst \voffset \base \soffset \offen \ioffset \md0 \md1 \md2
.endm


/* buffer memory operation macros */
.macro _global_load_b32 dst base src ioffset md0 md1 md2
    global_load_dword \dst \base \src \ioffset \md0 \md1 \md2
.endm

.macro _global_load_b64 dst base src ioffset md0 md1 md2
    global_load_dwordx2 \dst \base \src \ioffset \md0 \md1 \md2
.endm

.macro _global_load_b96 dst base src ioffset md0 md1 md2
    global_load_dwordx3 \dst \base \src \ioffset \md0 \md1 \md2
.endm

.macro _global_load_b128 dst base src ioffset md0 md1 md2
    global_load_dwordx4 \dst \base \src \ioffset \md0 \md1 \md2
.endm

.macro _global_load_d16_b16 dst base src ioffset md0 md1 md2
    global_load_short_d16 \dst \base \src \ioffset \md0 \md1 \md2
.endm

.macro _global_load_d16_hi_b16 dst base src ioffset md0 md1 md2
    global_load_short_d16_hi \dst \base \src \ioffset \md0 \md1 \md2
.endm

.macro _global_load_d16_u8 dst base src ioffset md0 md1 md2
    global_load_ubyte_d16 \dst \base \src \ioffset \md0 \md1 \md2
.endm

.macro _global_load_d16_hi_u8 dst base src ioffset md0 md1 md2
    global_load_ubyte_d16_hi \dst \base \src \ioffset \md0 \md1 \md2
.endm

.macro _global_load_u16 dst base src ioffset md0 md1 md2
    global_load_ushort \dst \base \src \ioffset \md0 \md1 \md2
.endm

.macro _global_store_b32 base src src2 md0 md1 md2
    global_store_dword \base \src \src2 \md0 \md1 \md2
.endm

.macro _global_store_b64 base src src2 md0 md1 md2
    global_store_dwordx2 \base \src \src2 \md0 \md1 \md2
.endm

.macro _global_store_b96 base src src2 md0 md1 md2
    global_store_dwordx3 \base \src \src2 \md0 \md1 \md2
.endm

.macro _global_store_b128 base src src2 md0 md1 md2
    global_store_dwordx4 \base \src \src2 \md0 \md1 \md2
.endm

.macro _global_store_d16_b16 base src src2 md0 md1 md2
    global_store_short \base \src \src2 \md0 \md1 \md2
.endm

.macro _global_store_d16_hi_b16 base src src2 md0 md1 md2
    global_store_short_d16_hi \base \src \src2 \md0 \md1 \md2
.endm

.macro _global_store_d16_u8 base src src2 md0 md1 md2
    global_store_ubyte_d16 \base \src \src2 \md0 \md1 \md2
.endm

.macro _global_store_d16_hi_u8 base src src2 md0 md1 md2
    global_store_ubyte_d16_hi \base \src \src2 \md0 \md1 \md2
.endm

.macro _global_store_u16 base src src2 md0 md1 md2
    global_store_ushort \base \src \src2 \md0 \md1 \md2
.endm

.macro _global_atomic_cmpswap_b32 tmp base data src ioffset md
    global_atomic_cmpswap \tmp \base \data \src \ioffset \md
.endm

.macro _global_atomic_cmpswap_b64 tmp base data src ioffset md
    global_atomic_cmpswap_x2 \tmp \base \data \src \ioffset \md
.endm


/******************************************/
/* Magic div and mod functions            */
/******************************************/
.macro V_MAGIC_DIV dstIdx:req, dividend:req, magicNumber:req, magicShift:req, magicA:req
    v_mul_hi_u32 v[\dstIdx+1], \dividend, \magicNumber
    v_mul_lo_u32 v[\dstIdx+0], \dividend, \magicA
    _v_add_u32 v[\dstIdx+0], v[\dstIdx+0], v[\dstIdx+1]
    v_lshrrev_b32 v[\dstIdx+0], \magicShift, v[\dstIdx+0]
.endm

/******************************************/
/* VGPR Assignments                       */
/******************************************/
/* ValuC range: [0-0), serializedStore enabled */
.set vgprValuC, 0
/* ValuA/B   Xn=PLR buffer idx,  In=InnerUnroll idx */
.set vgprValuA_X0_I0, 0
.set vgprValuA_X1_I0, 14
.set vgprValuA_X2_I0, 28
.set vgprValuA_X3_I0, 42
.set vgprG2LA, 182
.set vgprValuB_X0_I0, 56
.set vgprValuB_X1_I0, 72
.set vgprValuB_X2_I0, 88
.set vgprValuB_X3_I0, 104
.set vgprG2LB, 210
.set vgprLocalWriteAddrA, 120
.set vgprLocalWriteAddrB, 121
.set vgprGlobalReadOffsetA, 122
.set vgprGlobalReadOffsetB, 150
.set vgprLocalReadAddrA, 242
.set vgprLocalReadAddrB, 243
.set vgprSerial, 244
/* Num VGPR=256 */
/* Num AccVGPR=224 */

/******************************************/
/* SGPR Assignments                       */
/******************************************/
.set sgprKernArgAddress, 0 // (2)
.set sgprWorkGroup0, 2 // (1)
.set sgprWorkGroup1, 3 // (1)
.set sgprWorkGroup2, 4 // (1)
.set sgprLoopCounterL, 5 // (1)
.set sgprOrigLoopCounter, 6 // (1)
.set sgprSrdA, 8 // (4)
.set sgprSrdB, 12 // (4)
.set sgprSrdD, 16 // (4)
.set sgprSrdC, 20 // (4)
.set sgprTensor2dSizeA, 24 // (2)
.set sgprTensor2dSizeB, 26 // (2)
.set sgprAddressD, 28 // (2)
.set sgprAddressC, 30 // (2)
.set sgprAddressA, 32 // (2)
.set sgprAddressB, 34 // (2)
.set sgprAlpha, 36 // (1)
.set sgprBeta, 37 // (1)
.set sgprStridesD, 38 // (2)
.set sgprStridesC, 40 // (2)
.set sgprStridesA, 42 // (2)
.set sgprStridesB, 44 // (2)
.set sgprSizesFree, 46 // (3)
.set sgprSizesSum, 49 // (1)
.set sgprOrigStaggerUIter, 50 // (1)
.set sgprNumWorkGroups0, 51 // (1)
.set sgprNumWorkGroups1, 52 // (1)
.set sgprNumFullBlocks, 53 // (1)
.set sgprWgmRemainder1, 54 // (1)
.set sgprMagicNumberWgmRemainder1, 55 // (1)
.set sgprShadowLimitA, 0 // (2)
.set sgprShadowLimitB, 28 // (2)
.set sgprStaggerUIter, 7 // (1)
.set sgprWrapUA, 30 // (2)
.set sgprWrapUB, 32 // (2)
.set sgprGlobalReadIncsA, 34 // (1)
.set sgprGlobalReadIncsB, 35 // (1)
/* max SGPR=63 */

/* Size Assignments */
.set sgprSizeI, sgprSizesFree+0
.set sgprSizeJ, sgprSizesFree+1
.set sgprSizeK, sgprSizesFree+2
.set sgprSizeL, sgprSizesSum+0

/* Stride Assignments */
.set constStrideD0I, 1
.set sgprStrideD1J, sgprStridesD+0
.set sgprStrideDK, sgprStridesD+1
.set constStrideC0I, 1
.set sgprStrideC1J, sgprStridesC+0
.set sgprStrideCK, sgprStridesC+1
.set constStrideAL, 1
.set sgprStrideA0I, sgprStridesA+0
.set sgprStrideAK, sgprStridesA+1
.set constStrideBL, 1
.set sgprStrideB1J, sgprStridesB+0
.set sgprStrideBK, sgprStridesB+1

.set MT0, 224
.set MT1, 256
.set DepthU, 64
.set GSU, 1
.set BpeA, 2
.set BpeALog2, 1
.set BpeB, 2
.set BpeBLog2, 1
/* Number of elements to shift-left SRD */
.set SrdShiftLeftA, 2
.set SrdShiftLeftB, 2
/* 2GB limit - set offsets to -1 to exceed this and clamp */
.set BufferLimitA, 0xffffffff
.set BufferLimitB, 0xffffffff
.set BufferOOB, 0xfffff000

/******************************************/
/* Bits 127:96 of SRD.                    */
/* hex: 0x00020000                        */
/* dst_sel_x (3b): 0                      */
/* dst_sel_y (3b): 0                      */
/* dst_sel_z (3b): 0                      */
/* dst_sel_w (3b): 0                      */
/* num_format (3b): 0                     */
/* data_format (4b): 4                    */
/* user_vm_enable (1b): 0                 */
/* user_vm_mode (1b): 0                   */
/* index_stride (2b): 0                   */
/* add_tid_enable (1b): 0                 */
/* _unusedA (3b): 0                       */
/* nv (1b): 0                             */
/* _unusedB (2b): 0                       */
/* type (2b): 0                           */
/******************************************/
.set Srd127_96, 0x00020000

/* Global Offset A */
.macro GLOBAL_OFFSET_A vgprAddr:req vgprOffsetL:req vgprOffset0I:req vgprTmp:req
v_mul_lo_u32 v[\vgprTmp+0], s[sgprStrideA0I], v[\vgprOffset0I] // mul d1 lower
_v_add_co_u32 v[\vgprAddr+0], vcc, v[\vgprOffsetL], v[\vgprTmp+0] // accumulate K lower
_v_add_u32 v[\vgprAddr+0], 0x2, v[\vgprAddr+0]     // add prepad for pointer shift
v_lshlrev_b32 v[\vgprAddr+0], 0x1, v[\vgprAddr+0]  // offset *= bytes/element
.endm

/* Global Offset B */
.macro GLOBAL_OFFSET_B vgprAddr:req vgprOffsetL:req vgprOffset1J:req vgprTmp:req
v_mul_lo_u32 v[\vgprTmp+0], s[sgprStrideB1J], v[\vgprOffset1J] // mul d1 lower
_v_add_co_u32 v[\vgprAddr+0], vcc, v[\vgprOffsetL], v[\vgprTmp+0] // accumulate K lower
_v_add_u32 v[\vgprAddr+0], 0x2, v[\vgprAddr+0]     // add prepad for pointer shift
v_lshlrev_b32 v[\vgprAddr+0], 0x1, v[\vgprAddr+0]  // offset *= bytes/element
.endm

/******************************************/
/* Dynamic Scalar Divide: vQuotient=vDividend/vDivisor; vRemainder=vDividend%vDivisor; */
/******************************************/
.macro DYNAMIC_VECTOR_DIVIDE vQuotient vRemainder vDividend vDivisor vTmp0 vTmp1 sTmp
v_cvt_f32_u32 v[\vQuotient], v[\vDivisor]          // 
v_rcp_f32 v[\vQuotient], v[\vQuotient]             // 
v_mul_f32 v[\vQuotient], 0x4f800000, v[\vQuotient] // 
v_cvt_u32_f32 v[\vQuotient], v[\vQuotient]         // 
v_mul_lo_u32 v[\vRemainder], v[\vDivisor], v[\vQuotient] // 
v_mul_hi_u32 v[\vTmp0], v[\vDivisor], v[\vQuotient] // 
_v_sub_co_u32 v[\vTmp1], vcc, 0x0, v[\vRemainder]  // 
v_cmp_ne_i32 s[\sTmp:\sTmp+1], 0x0, v[\vTmp0]      // 
v_cndmask_b32 v[\vRemainder], v[\vTmp1], v[\vRemainder], s[\sTmp:\sTmp+1] // 
v_mul_hi_u32 v[\vRemainder], v[\vRemainder], v[\vQuotient] // 
_v_sub_co_u32 v[\vTmp0], vcc, v[\vQuotient], v[\vRemainder] // 
_v_add_co_u32 v[\vQuotient], vcc, v[\vQuotient], v[\vRemainder] // 
v_cndmask_b32 v[\vQuotient], v[\vQuotient], v[\vTmp0], s[\sTmp:\sTmp+1] // 
v_mul_hi_u32 v[\vQuotient], v[\vQuotient], v[\vDividend] // 
v_mul_lo_u32 v[\vRemainder], v[\vQuotient], v[\vDivisor] // 
_v_sub_co_u32 v[\vTmp0], vcc, v[\vDividend], v[\vRemainder] // 
v_cmp_ge_u32 s[\sTmp:\sTmp+1], v[\vDividend], v[\vRemainder] // 
_v_add_co_u32 v[\vRemainder], vcc, 0x1, v[\vQuotient] // 
_v_add_co_u32 v[\vTmp1], vcc, -1, v[\vQuotient]    // 
v_cmp_le_u32 vcc, v[\vDivisor], v[\vTmp0]          // 
s_and_b64 vcc, s[\sTmp:\sTmp+1], vcc               // 
v_cndmask_b32 v[\vQuotient], v[\vQuotient], v[\vRemainder], vcc // 
v_cndmask_b32 v[\vQuotient], v[\vTmp1], v[\vQuotient], s[\sTmp:\sTmp+1] // 
v_cmp_ne_i32 vcc, 0x0, v[\vDivisor]                // 
v_cndmask_b32 v[\vQuotient], -1, v[\vQuotient], vcc // final result
v_mul_lo_u32 v[\vRemainder], v[\vQuotient], v[\vDivisor] // 
_v_sub_co_u32 v[\vRemainder], vcc, v[\vDividend], v[\vRemainder] // final result
.endm


	;; [unrolled: 1-line block ×3, first 2 shown]
/******************************************/
/* Allocate Resources                     */
/******************************************/

Cijk_Alik_Bljk_HHS_BH_MT224x256x64_MI16x16x16x1_SN_1LDSB1_APM1_AF0EM1_AF1EM1_AMAS0_ASGT_ASLT_ASEM1_BL1_BS1_CLR0_DTVA0_DTVB0_ETSP_EPS1_ELFLR4_EMLL0_FSSC10_FL0_GLVWA2_GLVWB2_GRCGA1_GRCGB1_GRVWn1_GSU1_GSUASB_GLS0_IU1_K1_LBSPPA128_LBSPPB128_LPA4_LPB4_LRVW4_MIAV0_MKFGSU256_NTA0_NTB0_NTC3_NTD3_NEPBS0_NLCA1_NLCB1_ONLL1_PK0_PGR2_PLR5_PKA0_SIA3_SS1_SU4_SUM0_SUS256_SPO1_SRVW0_SSO6_SVW1_TSGRA0_TSGRB0_TT7_128_TLDS1_UMLDSA1_UMLDSB1_USFGROn1_VAW1_VSn1_VW1_VWB1_VFLRP0_WSGRA0_WSGRB0_WG32_8_1_WGMn32_preloaded: // Kernel start when preloading
s_setprio 3                                        // optimization store

/* Load Kernel Args */
_s_load_b512 s[24:39], s[sgprKernArgAddress:sgprKernArgAddress+1], 0x0 // 
_s_load_b512 s[40:55], s[sgprKernArgAddress:sgprKernArgAddress+1], 0x40 // 
s_mov_b32 m0, 0xff00                               // LDS clamp at 65280 bytes
v_mov_b32 v[vgprSerial], v0                        // thread serial id

/******************************************/
/* Local Read Addresses                   */
/******************************************/


/* local read addresses: tile assignments a/b */

/*lr0I*/
v_and_b32 v1, 63, v[vgprSerial]                    // 0. thread id in wave: wtid = tid % wavelength(64)
v_and_b32 v0, 15, v1                               // 1. N offset: nIdx = wtid % MI_N(16)
v_lshlrev_b32 v0, 0x6, v0                          // 1. N offset: nOffset = nIdx * nStride(64)
                                                   // 2. block offset: bnIdx = bnIdx % num1DBlocks(1) is 0. do nothing
                                                   // 4. apply VectorWidth: bnOffset = bnOffset * vw(1) (multiplier is 1, do nothing)
v_lshrrev_b32 v1, 4, v1                            // 5. K offset: kIdx = wtid / (MIN(16) * MIBB(1))
v_lshlrev_b32 v1, 0x2, v1                          // 5. K offset: lrKOffset = kIdx * mStride(4)
_v_add_u32 v0, v1, v0                              // 6. offset in wave: lrOffset = bnOffset + lrKOffset
v_lshrrev_b32 v2, 6, v[vgprSerial]                 // 7. wave offset in N dimen: wtid = tid / dividedForWaveId(64)
v_and_b32 v1, 1, v2                                // 7. wave offset in M dimen: wtid0 = wtid / num1DWaves(2)
v_lshlrev_b32 v1, 0xa, v1                          // 7. wave offset in M dimen: wOffset = wtid0 * W0Stride(1024)
_v_add_u32 v0, v1, v0                              // 8. final local read offset: flrOffset = lrOffset + WOffset
/*lr1J*/
v_and_b32 v2, 63, v[vgprSerial]                    // 0. thread id in wave: wtid = tid % wavelength(64)
v_and_b32 v1, 15, v2                               // 1. N offset: nIdx = wtid % MI_N(16)
v_lshlrev_b32 v1, 0x6, v1                          // 1. N offset: nOffset = nIdx * nStride(64)
                                                   // 2. block offset: bnIdx = bnIdx % num1DBlocks(1) is 0. do nothing
                                                   // 4. apply VectorWidth: bnOffset = bnOffset * vw(1) (multiplier is 1, do nothing)
v_lshrrev_b32 v2, 4, v2                            // 5. K offset: kIdx = wtid / (MIN(16) * MIBB(1))
v_lshlrev_b32 v2, 0x2, v2                          // 5. K offset: lrKOffset = kIdx * mStride(4)
_v_add_u32 v1, v2, v1                              // 6. offset in wave: lrOffset = bnOffset + lrKOffset
v_lshrrev_b32 v3, 7, v[vgprSerial]                 // 7. wave offset in N dimen: wtid = tid / dividedForWaveId(128)
v_and_b32 v2, 1, v3                                // 7. wave offset in M dimen: wtid0 = wtid / num1DWaves(2)
v_lshlrev_b32 v2, 0xa, v2                          // 7. wave offset in M dimen: wOffset = wtid0 * W0Stride(1024)
_v_add_u32 v1, v2, v1                              // 8. final local read offset: flrOffset = lrOffset + WOffset


/* local read addresses: final offsets a */

v_lshlrev_b32 v[vgprLocalReadAddrA], 0x1, v0       // Final Offset: offset = (lro0)*bpe
v_lshrrev_b32 v0, 7, v[vgprLocalReadAddrA]         // Final Offset: padding 4 per block 128
v_lshlrev_b32 v0, 0x3, v0                          // Final Offset: padding 4 per block 128
_v_add_u32 v[vgprLocalReadAddrA], v0, v[vgprLocalReadAddrA] // Final Offset: add padding 4 per block 128


/* local read addresses: final offsets b */

v_lshlrev_b32 v[vgprLocalReadAddrB], 0x1, v1       // Final Offset: offset = (lro1)*bpe
v_lshrrev_b32 v0, 7, v[vgprLocalReadAddrB]         // Final Offset: padding 4 per block 128
v_lshlrev_b32 v0, 0x3, v0                          // Final Offset: padding 4 per block 128
_v_add_u32 v[vgprLocalReadAddrB], v0, v[vgprLocalReadAddrB] // Final Offset: add padding 4 per block 128


/* local read addresses: declare addresses a */

/* N/A */


/* local read addresses: declare addresses b */

_v_add_co_u32 v[vgprLocalReadAddrB+0], vcc, 0x7700, v[vgprLocalReadAddrB+0] //  += LdsOffsetB (lower)


/* global read addresses: tile offset assignment a */

/* LVCA = 32 */
/* v0 = (local)groA-tile = serial/LVCA (note (wgA*MTA) will be added to SRD) */
/* v1 = groA-unroll = serial%LVCA */
v_lshrrev_b32 v0, 5, v[vgprSerial]                 // v0 = v[vgprSerial] / 32
v_and_b32 v1, 31, v[vgprSerial]                    // v1 = v[vgprSerial] % 32
/* gro-unroll *= glvw */
v_lshlrev_b32 v1, 0x1, v1                          // v1 = v1 * 2


/* global read addresses: tile offset assignment b */

/* LVCB = 32 */
/* v2 = (local)groB-tile = serial/LVCB (note (wgB*MTB) will be added to SRD) */
/* v3 = groB-unroll = serial%LVCB */
v_lshrrev_b32 v2, 5, v[vgprSerial]                 // v2 = v[vgprSerial] / 32
v_and_b32 v3, 31, v[vgprSerial]                    // v3 = v[vgprSerial] % 32
/* gro-unroll *= glvw */
v_lshlrev_b32 v3, 0x1, v3                          // v3 = v3 * 2


/******************************************/
/* Local Write Addresses                  */
/******************************************/

/* lwaTileAssignmentA = v0 */

/* lwaTileAssignmentB = v2 */

/* lwaUnrollAssignmentA = v1 */

/* lwaUnrollAssignmentB = v3 */


/* local write addresses: first offset a */

v_mul_u32_u24 v[vgprLocalWriteAddrA], 0x40, v0     // lwAL**(DepthU_Compute + PAD)
_v_add_lshl_u32 v[vgprLocalWriteAddrA], v1, v[vgprLocalWriteAddrA], 0x1 // lwFOA = (lwAA + lwAL*(DepthU+PAD))*bpe
v_lshrrev_b32 v4, 7, v[vgprLocalWriteAddrA]        // padding 4 per block 128
v_lshlrev_b32 v4, 0x3, v4                          // padding 4 per block 128
_v_add_u32 v[vgprLocalWriteAddrA], v4, v[vgprLocalWriteAddrA] // add padding 4 per block 128


/* local write addresses: first offset b */

v_mul_u32_u24 v[vgprLocalWriteAddrB], 0x40, v2     // lwBL**(DepthU_Compute + PAD)
_v_add_lshl_u32 v[vgprLocalWriteAddrB], v3, v[vgprLocalWriteAddrB], 0x1 // lwFOB = (lwBB + lwBL*(DepthU+PAD))*bpe
v_lshrrev_b32 v4, 7, v[vgprLocalWriteAddrB]        // padding 4 per block 128
v_lshlrev_b32 v4, 0x3, v4                          // padding 4 per block 128
_v_add_u32 v[vgprLocalWriteAddrB], v4, v[vgprLocalWriteAddrB] // add padding 4 per block 128
_v_add_co_u32 v[vgprLocalWriteAddrB], vcc, 0x7700, v[vgprLocalWriteAddrB] // lwFOB = lwB1J + lwBL*MT1J + LDS_OFFSET_B=15232*2


	;; [unrolled: 1-line block ×7, first 2 shown]
s_waitcnt lgkmcnt(0)                               // wait for 128 bytes of kern args
s_mov_b64 s[sgprSrdC+0:sgprSrdC+0+1], s[sgprAddressC+0:sgprAddressC+0+1] // copy addressC
s_mov_b64 s[sgprSrdD+0:sgprSrdD+0+1], s[sgprAddressD+0:sgprAddressD+0+1] // copy addressD
s_sub_u32 s[sgprSrdA+0], s[sgprAddressA+0], 4      // pre-pad to make room for possible pointer shift
s_subb_u32 s[sgprSrdA+1], s[sgprAddressA+1], 0     // pre-pad to make room for possible pointer shift
s_sub_u32 s[sgprSrdB+0], s[sgprAddressB+0], 4      // pre-pad to make room for possible pointer shift
s_subb_u32 s[sgprSrdB+1], s[sgprAddressB+1], 0     // pre-pad to make room for possible pointer shift

.set AddressD, UNDEF
.set AddressC, UNDEF
.set AddressA, UNDEF
.set AddressB, UNDEF

/* Short circuit condition if Alpha == 0, then sumDims=0 */
v_cmp_eq_f32 vcc, s[sgprAlpha], 0.0                // Alpha == 0.0f ?
s_cbranch_vccz label_AlphaNonZero                  // branch if alpha != 0
s_mov_b32 s[sgprSizesSum+0], 0x0                   // Set summation dim=0 if Alpha == 0
label_AlphaNonZero:


	;; [unrolled: 1-line block ×3, first 2 shown]
/******************************************/
/* Begin setupNewTile, isPap=False           */
/******************************************/


/* global read addresses: work-group */

/* graWorkGroup mapping */


/* global read addresses: unroll assignment a */

/* v1 */


/* global read addresses: unroll assignment b */

/* v3 */


/* global read addresses: other free assignments */

/* s[sgprWorkGroup2] */


/* global read addresses: tile offsets a */

v_mov_b32 v4, v0                                   // groA0I_0
_v_add_co_u32 v5, vcc, 8, v4                       // groA0I_1 += LSPA
_v_add_co_u32 v6, vcc, 8, v5                       // groA0I_2 += LSPA
_v_add_co_u32 v7, vcc, 8, v6                       // groA0I_3 += LSPA
_v_add_co_u32 v8, vcc, 8, v7                       // groA0I_4 += LSPA
_v_add_co_u32 v9, vcc, 8, v8                       // groA0I_5 += LSPA
_v_add_co_u32 v10, vcc, 8, v9                      // groA0I_6 += LSPA
_v_add_co_u32 v11, vcc, 8, v10                     // groA0I_7 += LSPA
_v_add_co_u32 v12, vcc, 8, v11                     // groA0I_8 += LSPA
_v_add_co_u32 v13, vcc, 8, v12                     // groA0I_9 += LSPA
_v_add_co_u32 v14, vcc, 8, v13                     // groA0I_10 += LSPA
_v_add_co_u32 v15, vcc, 8, v14                     // groA0I_11 += LSPA
_v_add_co_u32 v16, vcc, 8, v15                     // groA0I_12 += LSPA
_v_add_co_u32 v17, vcc, 8, v16                     // groA0I_13 += LSPA
_v_add_co_u32 v18, vcc, 8, v17                     // groA0I_14 += LSPA
_v_add_co_u32 v19, vcc, 8, v18                     // groA0I_15 += LSPA
_v_add_co_u32 v20, vcc, 8, v19                     // groA0I_16 += LSPA
_v_add_co_u32 v21, vcc, 8, v20                     // groA0I_17 += LSPA
_v_add_co_u32 v22, vcc, 8, v21                     // groA0I_18 += LSPA
_v_add_co_u32 v23, vcc, 8, v22                     // groA0I_19 += LSPA
_v_add_co_u32 v24, vcc, 8, v23                     // groA0I_20 += LSPA
_v_add_co_u32 v25, vcc, 8, v24                     // groA0I_21 += LSPA
_v_add_co_u32 v26, vcc, 8, v25                     // groA0I_22 += LSPA
_v_add_co_u32 v27, vcc, 8, v26                     // groA0I_23 += LSPA
_v_add_co_u32 v28, vcc, 8, v27                     // groA0I_24 += LSPA
_v_add_co_u32 v29, vcc, 8, v28                     // groA0I_25 += LSPA
_v_add_co_u32 v30, vcc, 8, v29                     // groA0I_26 += LSPA
_v_add_co_u32 v31, vcc, 8, v30                     // groA0I_27 += LSPA


/* global read addresses: tile offsets b */

v_mov_b32 v32, v2                                  // groB1J_0
_v_add_co_u32 v33, vcc, 8, v32                     // groB1J_1 += LSPB
_v_add_co_u32 v34, vcc, 8, v33                     // groB1J_2 += LSPB
_v_add_co_u32 v35, vcc, 8, v34                     // groB1J_3 += LSPB
_v_add_co_u32 v36, vcc, 8, v35                     // groB1J_4 += LSPB
_v_add_co_u32 v37, vcc, 8, v36                     // groB1J_5 += LSPB
_v_add_co_u32 v38, vcc, 8, v37                     // groB1J_6 += LSPB
_v_add_co_u32 v39, vcc, 8, v38                     // groB1J_7 += LSPB
_v_add_co_u32 v40, vcc, 8, v39                     // groB1J_8 += LSPB
_v_add_co_u32 v41, vcc, 8, v40                     // groB1J_9 += LSPB
_v_add_co_u32 v42, vcc, 8, v41                     // groB1J_10 += LSPB
_v_add_co_u32 v43, vcc, 8, v42                     // groB1J_11 += LSPB
_v_add_co_u32 v44, vcc, 8, v43                     // groB1J_12 += LSPB
_v_add_co_u32 v45, vcc, 8, v44                     // groB1J_13 += LSPB
_v_add_co_u32 v46, vcc, 8, v45                     // groB1J_14 += LSPB
_v_add_co_u32 v47, vcc, 8, v46                     // groB1J_15 += LSPB
_v_add_co_u32 v48, vcc, 8, v47                     // groB1J_16 += LSPB
_v_add_co_u32 v49, vcc, 8, v48                     // groB1J_17 += LSPB
_v_add_co_u32 v50, vcc, 8, v49                     // groB1J_18 += LSPB
_v_add_co_u32 v51, vcc, 8, v50                     // groB1J_19 += LSPB
_v_add_co_u32 v52, vcc, 8, v51                     // groB1J_20 += LSPB
_v_add_co_u32 v53, vcc, 8, v52                     // groB1J_21 += LSPB
_v_add_co_u32 v54, vcc, 8, v53                     // groB1J_22 += LSPB
_v_add_co_u32 v55, vcc, 8, v54                     // groB1J_23 += LSPB
_v_add_co_u32 v56, vcc, 8, v55                     // groB1J_24 += LSPB
_v_add_co_u32 v57, vcc, 8, v56                     // groB1J_25 += LSPB
_v_add_co_u32 v58, vcc, 8, v57                     // groB1J_26 += LSPB
_v_add_co_u32 v59, vcc, 8, v58                     // groB1J_27 += LSPB
_v_add_co_u32 v60, vcc, 8, v59                     // groB1J_28 += LSPB
_v_add_co_u32 v61, vcc, 8, v60                     // groB1J_29 += LSPB
_v_add_co_u32 v62, vcc, 8, v61                     // groB1J_30 += LSPB
_v_add_co_u32 v63, vcc, 8, v62                     // groB1J_31 += LSPB


/* global read addresses: unroll offsets a */

v_mov_b32 v64, v1                                  // groAL_0


/* global read addresses: unroll offsets b */

v_mov_b32 v65, v3                                  // groBL_0


/* global read addresses: final offsets a */

GLOBAL_OFFSET_A vgprGlobalReadOffsetA+0, 64,  4, 66 // gROA_0_0_0_0
GLOBAL_OFFSET_A vgprGlobalReadOffsetA+1, 64,  5, 66 // gROA_0_0_1_0
GLOBAL_OFFSET_A vgprGlobalReadOffsetA+2, 64,  6, 66 // gROA_0_0_2_0
GLOBAL_OFFSET_A vgprGlobalReadOffsetA+3, 64,  7, 66 // gROA_0_0_3_0
GLOBAL_OFFSET_A vgprGlobalReadOffsetA+4, 64,  8, 66 // gROA_0_0_4_0
GLOBAL_OFFSET_A vgprGlobalReadOffsetA+5, 64,  9, 66 // gROA_0_0_5_0
GLOBAL_OFFSET_A vgprGlobalReadOffsetA+6, 64, 10, 66 // gROA_0_0_6_0
GLOBAL_OFFSET_A vgprGlobalReadOffsetA+7, 64, 11, 66 // gROA_0_0_7_0
GLOBAL_OFFSET_A vgprGlobalReadOffsetA+8, 64, 12, 66 // gROA_0_0_8_0
GLOBAL_OFFSET_A vgprGlobalReadOffsetA+9, 64, 13, 66 // gROA_0_0_9_0
GLOBAL_OFFSET_A vgprGlobalReadOffsetA+10, 64, 14, 66 // gROA_0_0_10_0
GLOBAL_OFFSET_A vgprGlobalReadOffsetA+11, 64, 15, 66 // gROA_0_0_11_0
GLOBAL_OFFSET_A vgprGlobalReadOffsetA+12, 64, 16, 66 // gROA_0_0_12_0
GLOBAL_OFFSET_A vgprGlobalReadOffsetA+13, 64, 17, 66 // gROA_0_0_13_0
GLOBAL_OFFSET_A vgprGlobalReadOffsetA+14, 64, 18, 66 // gROA_0_0_14_0
GLOBAL_OFFSET_A vgprGlobalReadOffsetA+15, 64, 19, 66 // gROA_0_0_15_0
GLOBAL_OFFSET_A vgprGlobalReadOffsetA+16, 64, 20, 66 // gROA_0_0_16_0
GLOBAL_OFFSET_A vgprGlobalReadOffsetA+17, 64, 21, 66 // gROA_0_0_17_0
GLOBAL_OFFSET_A vgprGlobalReadOffsetA+18, 64, 22, 66 // gROA_0_0_18_0
GLOBAL_OFFSET_A vgprGlobalReadOffsetA+19, 64, 23, 66 // gROA_0_0_19_0
GLOBAL_OFFSET_A vgprGlobalReadOffsetA+20, 64, 24, 66 // gROA_0_0_20_0
GLOBAL_OFFSET_A vgprGlobalReadOffsetA+21, 64, 25, 66 // gROA_0_0_21_0
GLOBAL_OFFSET_A vgprGlobalReadOffsetA+22, 64, 26, 66 // gROA_0_0_22_0
GLOBAL_OFFSET_A vgprGlobalReadOffsetA+23, 64, 27, 66 // gROA_0_0_23_0
GLOBAL_OFFSET_A vgprGlobalReadOffsetA+24, 64, 28, 66 // gROA_0_0_24_0
GLOBAL_OFFSET_A vgprGlobalReadOffsetA+25, 64, 29, 66 // gROA_0_0_25_0
GLOBAL_OFFSET_A vgprGlobalReadOffsetA+26, 64, 30, 66 // gROA_0_0_26_0
GLOBAL_OFFSET_A vgprGlobalReadOffsetA+27, 64, 31, 66 // gROA_0_0_27_0


/* global read addresses: final offsets b */

GLOBAL_OFFSET_B vgprGlobalReadOffsetB+0, 65, 32, 4 // gROB_0_0_0_0
GLOBAL_OFFSET_B vgprGlobalReadOffsetB+1, 65, 33, 4 // gROB_0_0_1_0
GLOBAL_OFFSET_B vgprGlobalReadOffsetB+2, 65, 34, 4 // gROB_0_0_2_0
GLOBAL_OFFSET_B vgprGlobalReadOffsetB+3, 65, 35, 4 // gROB_0_0_3_0
GLOBAL_OFFSET_B vgprGlobalReadOffsetB+4, 65, 36, 4 // gROB_0_0_4_0
GLOBAL_OFFSET_B vgprGlobalReadOffsetB+5, 65, 37, 4 // gROB_0_0_5_0
GLOBAL_OFFSET_B vgprGlobalReadOffsetB+6, 65, 38, 4 // gROB_0_0_6_0
GLOBAL_OFFSET_B vgprGlobalReadOffsetB+7, 65, 39, 4 // gROB_0_0_7_0
GLOBAL_OFFSET_B vgprGlobalReadOffsetB+8, 65, 40, 4 // gROB_0_0_8_0
GLOBAL_OFFSET_B vgprGlobalReadOffsetB+9, 65, 41, 4 // gROB_0_0_9_0
GLOBAL_OFFSET_B vgprGlobalReadOffsetB+10, 65, 42, 4 // gROB_0_0_10_0
GLOBAL_OFFSET_B vgprGlobalReadOffsetB+11, 65, 43, 4 // gROB_0_0_11_0
GLOBAL_OFFSET_B vgprGlobalReadOffsetB+12, 65, 44, 4 // gROB_0_0_12_0
GLOBAL_OFFSET_B vgprGlobalReadOffsetB+13, 65, 45, 4 // gROB_0_0_13_0
GLOBAL_OFFSET_B vgprGlobalReadOffsetB+14, 65, 46, 4 // gROB_0_0_14_0
GLOBAL_OFFSET_B vgprGlobalReadOffsetB+15, 65, 47, 4 // gROB_0_0_15_0
GLOBAL_OFFSET_B vgprGlobalReadOffsetB+16, 65, 48, 4 // gROB_0_0_16_0
GLOBAL_OFFSET_B vgprGlobalReadOffsetB+17, 65, 49, 4 // gROB_0_0_17_0
GLOBAL_OFFSET_B vgprGlobalReadOffsetB+18, 65, 50, 4 // gROB_0_0_18_0
GLOBAL_OFFSET_B vgprGlobalReadOffsetB+19, 65, 51, 4 // gROB_0_0_19_0
GLOBAL_OFFSET_B vgprGlobalReadOffsetB+20, 65, 52, 4 // gROB_0_0_20_0
GLOBAL_OFFSET_B vgprGlobalReadOffsetB+21, 65, 53, 4 // gROB_0_0_21_0
GLOBAL_OFFSET_B vgprGlobalReadOffsetB+22, 65, 54, 4 // gROB_0_0_22_0
GLOBAL_OFFSET_B vgprGlobalReadOffsetB+23, 65, 55, 4 // gROB_0_0_23_0
GLOBAL_OFFSET_B vgprGlobalReadOffsetB+24, 65, 56, 4 // gROB_0_0_24_0
GLOBAL_OFFSET_B vgprGlobalReadOffsetB+25, 65, 57, 4 // gROB_0_0_25_0
GLOBAL_OFFSET_B vgprGlobalReadOffsetB+26, 65, 58, 4 // gROB_0_0_26_0
GLOBAL_OFFSET_B vgprGlobalReadOffsetB+27, 65, 59, 4 // gROB_0_0_27_0
GLOBAL_OFFSET_B vgprGlobalReadOffsetB+28, 65, 60, 4 // gROB_0_0_28_0
GLOBAL_OFFSET_B vgprGlobalReadOffsetB+29, 65, 61, 4 // gROB_0_0_29_0
GLOBAL_OFFSET_B vgprGlobalReadOffsetB+30, 65, 62, 4 // gROB_0_0_30_0
GLOBAL_OFFSET_B vgprGlobalReadOffsetB+31, 65, 63, 4 // gROB_0_0_31_0


/* global read addresses: addresses a */

/* max read offset = size[n] * stride[n-1] */
s_mul_hi_u32 s61, s[sgprWorkGroup0], 224           // WorkGroup[01] * MT
s_mul_i32 s60, s[sgprWorkGroup0], 224              // WorkGroup[01] * MT
s_mul_hi_u32 s61, s60, s[sgprStrideA0I]            // tlu=0, scaled tile-offset by stride
s_mul_i32 s60, s60, s[sgprStrideA0I]               // tlu=0, scaled tile-offset by stride
s_sub_u32 s[sgprShadowLimitA+0], s[sgprTensor2dSizeA], s60 // sub tileStart
s_subb_u32 s[sgprShadowLimitA+1], s[sgprTensor2dSizeA+1], s61 // sub tileStart
s_lshl_b64 s[sgprShadowLimitA:sgprShadowLimitA+1], s[sgprShadowLimitA:sgprShadowLimitA+1], 0x1 // Set limit to use bytes
s_add_u32 s[sgprShadowLimitA+0], s[sgprShadowLimitA+0], 4 // extend limit for pre-pad
s_addc_u32 s[sgprShadowLimitA+1], s[sgprShadowLimitA+1], 0 // extend limit for pre-pad
s_cmp_eq_u32 s[sgprShadowLimitA+1], 0              // are we within 2^32?
s_cselect_b32 s[sgprSrdA+2], s[sgprShadowLimitA+0], BufferLimitA // Move shadow to real if we are within 2^32
s_mul_hi_u32 s59, s[sgprStrideAK], s[sgprWorkGroup2] // Stride*WG
s_mul_i32 s58, s[sgprStrideAK], s[sgprWorkGroup2]  // Stride*WG
s_add_u32 s60, s60, s58                            // accum wg term to tilestart
s_addc_u32 s61, s61, s59                           // accum wg term to tilestart
s_lshl_b64 s[60:61], s[60:61], 0x1                 // tileStart *= BPE
s_add_u32 s[sgprSrdA+0], s[sgprSrdA+0], s60        // SRD base = Address+ tileStart0
s_addc_u32 s[sgprSrdA+1], s[sgprSrdA+1], s61       // SRD base = Address+ tileStart1
s_mov_b32 s[sgprSrdA+3], Srd127_96                 // Set bits 127_96 in SRD


/* global read addresses: addresses b */

/* max read offset = size[n] * stride[n-1] */
s_mul_hi_u32 s61, s[sgprWorkGroup1], 256           // WorkGroup[01] * MT
s_mul_i32 s60, s[sgprWorkGroup1], 256              // WorkGroup[01] * MT
s_mul_hi_u32 s61, s60, s[sgprStrideB1J]            // tlu=0, scaled tile-offset by stride
s_mul_i32 s60, s60, s[sgprStrideB1J]               // tlu=0, scaled tile-offset by stride
s_sub_u32 s[sgprShadowLimitB+0], s[sgprTensor2dSizeB], s60 // sub tileStart
s_subb_u32 s[sgprShadowLimitB+1], s[sgprTensor2dSizeB+1], s61 // sub tileStart
s_lshl_b64 s[sgprShadowLimitB:sgprShadowLimitB+1], s[sgprShadowLimitB:sgprShadowLimitB+1], 0x1 // Set limit to use bytes
s_add_u32 s[sgprShadowLimitB+0], s[sgprShadowLimitB+0], 4 // extend limit for pre-pad
s_addc_u32 s[sgprShadowLimitB+1], s[sgprShadowLimitB+1], 0 // extend limit for pre-pad
s_cmp_eq_u32 s[sgprShadowLimitB+1], 0              // are we within 2^32?
s_cselect_b32 s[sgprSrdB+2], s[sgprShadowLimitB+0], BufferLimitB // Move shadow to real if we are within 2^32
s_mul_hi_u32 s59, s[sgprStrideBK], s[sgprWorkGroup2] // Stride*WG
s_mul_i32 s58, s[sgprStrideBK], s[sgprWorkGroup2]  // Stride*WG
s_add_u32 s60, s60, s58                            // accum wg term to tilestart
s_addc_u32 s61, s61, s59                           // accum wg term to tilestart
s_lshl_b64 s[60:61], s[60:61], 0x1                 // tileStart *= BPE
s_add_u32 s[sgprSrdB+0], s[sgprSrdB+0], s60        // SRD base = Address+ tileStart0
s_addc_u32 s[sgprSrdB+1], s[sgprSrdB+1], s61       // SRD base = Address+ tileStart1
s_mov_b32 s[sgprSrdB+3], Srd127_96                 // Set bits 127_96 in SRD


/* global read addresses: increments a */

s_mov_b32 s[sgprGlobalReadIncsA+0], DepthU*BpeA    // incrA (unrollIdx)


/* global read addresses: increments b */

s_mov_b32 s[sgprGlobalReadIncsB+0], DepthU*BpeB    // incrB (unrollIdx)

/* declare loop num iterations */


s_lshr_b32 s[sgprLoopCounterL], s[sgprSizesSum+0], 6 // s[sgprLoopCounterL] = s[sgprSizesSum+0] / 64
s_mov_b32 s[sgprOrigLoopCounter], s[sgprLoopCounterL] // copy loop counter

s_and_b32 s[sgprStaggerUIter], s[sgprOrigStaggerUIter], s[sgprWorkGroup0] // Compute actual stagger start for this tile
s_lshl_b32 s[sgprStaggerUIter], s[sgprStaggerUIter], 1 // shift by StaggerUStride


/* SRDs += (StaggerUIter) * GlobalReadIncsA+0 */
s_mul_hi_u32 s59, s[sgprStaggerUIter], s[sgprGlobalReadIncsA+0] //  stagger byte offset
s_mul_i32 s58, s[sgprStaggerUIter], s[sgprGlobalReadIncsA+0] //  stagger byte offset
s_mul_hi_u32 s[sgprWrapUA+1], s[sgprLoopCounterL], s[sgprGlobalReadIncsA+0] // Number of bytes accessed by the unroll loop
s_mul_i32 s[sgprWrapUA+0], s[sgprLoopCounterL], s[sgprGlobalReadIncsA+0] // Number of bytes accessed by the unroll loop
s_sub_u32 s[sgprWrapUA+0], s[sgprGlobalReadIncsA+0], s[sgprWrapUA+0] // remove one iteration
s_subb_u32 s[sgprWrapUA+1], 0, s[sgprWrapUA+1]     // remove one iteration
s_add_u32 s[sgprSrdA+0], s[sgprSrdA+0], s58        // gra SRD += inc(lower)
s_addc_u32  s[sgprSrdA+1], s[sgprSrdA+1], s59      // gra SRD += inc(upper)
s_sub_u32 s[sgprShadowLimitA+0], s[sgprShadowLimitA+0], s58 // limit -= inc)
s_subb_u32 s[sgprShadowLimitA+1], s[sgprShadowLimitA+1], s59 // limit -= inc)
s_cmp_eq_u32 s[sgprShadowLimitA+1], 0              // are we within 2^32?
s_cselect_b32 s[sgprSrdA+2], s[sgprShadowLimitA+0], BufferLimitA // Move shadow to real if we are within 2^32


/* SRDs += (StaggerUIter) * GlobalReadIncsB+0 */
s_mul_hi_u32 s59, s[sgprStaggerUIter], s[sgprGlobalReadIncsB+0] //  stagger byte offset
s_mul_i32 s58, s[sgprStaggerUIter], s[sgprGlobalReadIncsB+0] //  stagger byte offset
s_mul_hi_u32 s[sgprWrapUB+1], s[sgprLoopCounterL], s[sgprGlobalReadIncsB+0] // Number of bytes accessed by the unroll loop
s_mul_i32 s[sgprWrapUB+0], s[sgprLoopCounterL], s[sgprGlobalReadIncsB+0] // Number of bytes accessed by the unroll loop
s_sub_u32 s[sgprWrapUB+0], s[sgprGlobalReadIncsB+0], s[sgprWrapUB+0] // remove one iteration
s_subb_u32 s[sgprWrapUB+1], 0, s[sgprWrapUB+1]     // remove one iteration
s_add_u32 s[sgprSrdB+0], s[sgprSrdB+0], s58        // gra SRD += inc(lower)
s_addc_u32  s[sgprSrdB+1], s[sgprSrdB+1], s59      // gra SRD += inc(upper)
s_sub_u32 s[sgprShadowLimitB+0], s[sgprShadowLimitB+0], s58 // limit -= inc)
s_subb_u32 s[sgprShadowLimitB+1], s[sgprShadowLimitB+1], s59 // limit -= inc)
s_cmp_eq_u32 s[sgprShadowLimitB+1], 0              // are we within 2^32?
s_cselect_b32 s[sgprSrdB+2], s[sgprShadowLimitB+0], BufferLimitB // Move shadow to real if we are within 2^32
s_add_u32 s[sgprStaggerUIter], s[sgprStaggerUIter], 2 // Subtract (PGR-1); StaggerUIter now contains target iteration to wrap

/* local read addresses: init pointers a */


/* localReadInitPointers */

/* local read addresses: init pointers b */


/* localReadInitPointers */


/* prefetch: global -> local */

s_cmp_eq_u32 s[sgprLoopCounterL], 0                // at last iteration?
s_setprio 0                                        // optimization store
s_cbranch_scc1 ShadowInitStart_10                  // skip to ShadowInitStart iter b/c numIter==0


_buffer_load_b32 v[vgprG2LA+0], v[vgprGlobalReadOffsetA+0], s[sgprSrdA:sgprSrdA+3], 0, offen offset:0 // G -> Reg 0_0_0_0
_buffer_load_b32 v[vgprG2LA+1], v[vgprGlobalReadOffsetA+1], s[sgprSrdA:sgprSrdA+3], 0, offen offset:0 // G -> Reg 0_0_1_0
_buffer_load_b32 v[vgprG2LA+2], v[vgprGlobalReadOffsetA+2], s[sgprSrdA:sgprSrdA+3], 0, offen offset:0 // G -> Reg 0_0_2_0
_buffer_load_b32 v[vgprG2LA+3], v[vgprGlobalReadOffsetA+3], s[sgprSrdA:sgprSrdA+3], 0, offen offset:0 // G -> Reg 0_0_3_0
_buffer_load_b32 v[vgprG2LA+4], v[vgprGlobalReadOffsetA+4], s[sgprSrdA:sgprSrdA+3], 0, offen offset:0 // G -> Reg 0_0_4_0
_buffer_load_b32 v[vgprG2LA+5], v[vgprGlobalReadOffsetA+5], s[sgprSrdA:sgprSrdA+3], 0, offen offset:0 // G -> Reg 0_0_5_0
_buffer_load_b32 v[vgprG2LA+6], v[vgprGlobalReadOffsetA+6], s[sgprSrdA:sgprSrdA+3], 0, offen offset:0 // G -> Reg 0_0_6_0
_buffer_load_b32 v[vgprG2LA+7], v[vgprGlobalReadOffsetA+7], s[sgprSrdA:sgprSrdA+3], 0, offen offset:0 // G -> Reg 0_0_7_0
_buffer_load_b32 v[vgprG2LA+8], v[vgprGlobalReadOffsetA+8], s[sgprSrdA:sgprSrdA+3], 0, offen offset:0 // G -> Reg 0_0_8_0
_buffer_load_b32 v[vgprG2LA+9], v[vgprGlobalReadOffsetA+9], s[sgprSrdA:sgprSrdA+3], 0, offen offset:0 // G -> Reg 0_0_9_0
_buffer_load_b32 v[vgprG2LA+10], v[vgprGlobalReadOffsetA+10], s[sgprSrdA:sgprSrdA+3], 0, offen offset:0 // G -> Reg 0_0_10_0
_buffer_load_b32 v[vgprG2LA+11], v[vgprGlobalReadOffsetA+11], s[sgprSrdA:sgprSrdA+3], 0, offen offset:0 // G -> Reg 0_0_11_0
_buffer_load_b32 v[vgprG2LA+12], v[vgprGlobalReadOffsetA+12], s[sgprSrdA:sgprSrdA+3], 0, offen offset:0 // G -> Reg 0_0_12_0
_buffer_load_b32 v[vgprG2LA+13], v[vgprGlobalReadOffsetA+13], s[sgprSrdA:sgprSrdA+3], 0, offen offset:0 // G -> Reg 0_0_13_0
_buffer_load_b32 v[vgprG2LA+14], v[vgprGlobalReadOffsetA+14], s[sgprSrdA:sgprSrdA+3], 0, offen offset:0 // G -> Reg 0_0_14_0
_buffer_load_b32 v[vgprG2LA+15], v[vgprGlobalReadOffsetA+15], s[sgprSrdA:sgprSrdA+3], 0, offen offset:0 // G -> Reg 0_0_15_0
_buffer_load_b32 v[vgprG2LA+16], v[vgprGlobalReadOffsetA+16], s[sgprSrdA:sgprSrdA+3], 0, offen offset:0 // G -> Reg 0_0_16_0
_buffer_load_b32 v[vgprG2LA+17], v[vgprGlobalReadOffsetA+17], s[sgprSrdA:sgprSrdA+3], 0, offen offset:0 // G -> Reg 0_0_17_0
_buffer_load_b32 v[vgprG2LA+18], v[vgprGlobalReadOffsetA+18], s[sgprSrdA:sgprSrdA+3], 0, offen offset:0 // G -> Reg 0_0_18_0
_buffer_load_b32 v[vgprG2LA+19], v[vgprGlobalReadOffsetA+19], s[sgprSrdA:sgprSrdA+3], 0, offen offset:0 // G -> Reg 0_0_19_0
_buffer_load_b32 v[vgprG2LA+20], v[vgprGlobalReadOffsetA+20], s[sgprSrdA:sgprSrdA+3], 0, offen offset:0 // G -> Reg 0_0_20_0
_buffer_load_b32 v[vgprG2LA+21], v[vgprGlobalReadOffsetA+21], s[sgprSrdA:sgprSrdA+3], 0, offen offset:0 // G -> Reg 0_0_21_0
_buffer_load_b32 v[vgprG2LA+22], v[vgprGlobalReadOffsetA+22], s[sgprSrdA:sgprSrdA+3], 0, offen offset:0 // G -> Reg 0_0_22_0
_buffer_load_b32 v[vgprG2LA+23], v[vgprGlobalReadOffsetA+23], s[sgprSrdA:sgprSrdA+3], 0, offen offset:0 // G -> Reg 0_0_23_0
_buffer_load_b32 v[vgprG2LA+24], v[vgprGlobalReadOffsetA+24], s[sgprSrdA:sgprSrdA+3], 0, offen offset:0 // G -> Reg 0_0_24_0
_buffer_load_b32 v[vgprG2LA+25], v[vgprGlobalReadOffsetA+25], s[sgprSrdA:sgprSrdA+3], 0, offen offset:0 // G -> Reg 0_0_25_0
_buffer_load_b32 v[vgprG2LA+26], v[vgprGlobalReadOffsetA+26], s[sgprSrdA:sgprSrdA+3], 0, offen offset:0 // G -> Reg 0_0_26_0
_buffer_load_b32 v[vgprG2LA+27], v[vgprGlobalReadOffsetA+27], s[sgprSrdA:sgprSrdA+3], 0, offen offset:0 // G -> Reg 0_0_27_0


_buffer_load_b32 v[vgprG2LB+0], v[vgprGlobalReadOffsetB+0], s[sgprSrdB:sgprSrdB+3], 0, offen offset:0 // G -> Reg 0_0_0_0
_buffer_load_b32 v[vgprG2LB+1], v[vgprGlobalReadOffsetB+1], s[sgprSrdB:sgprSrdB+3], 0, offen offset:0 // G -> Reg 0_0_1_0
_buffer_load_b32 v[vgprG2LB+2], v[vgprGlobalReadOffsetB+2], s[sgprSrdB:sgprSrdB+3], 0, offen offset:0 // G -> Reg 0_0_2_0
_buffer_load_b32 v[vgprG2LB+3], v[vgprGlobalReadOffsetB+3], s[sgprSrdB:sgprSrdB+3], 0, offen offset:0 // G -> Reg 0_0_3_0
_buffer_load_b32 v[vgprG2LB+4], v[vgprGlobalReadOffsetB+4], s[sgprSrdB:sgprSrdB+3], 0, offen offset:0 // G -> Reg 0_0_4_0
_buffer_load_b32 v[vgprG2LB+5], v[vgprGlobalReadOffsetB+5], s[sgprSrdB:sgprSrdB+3], 0, offen offset:0 // G -> Reg 0_0_5_0
_buffer_load_b32 v[vgprG2LB+6], v[vgprGlobalReadOffsetB+6], s[sgprSrdB:sgprSrdB+3], 0, offen offset:0 // G -> Reg 0_0_6_0
_buffer_load_b32 v[vgprG2LB+7], v[vgprGlobalReadOffsetB+7], s[sgprSrdB:sgprSrdB+3], 0, offen offset:0 // G -> Reg 0_0_7_0
_buffer_load_b32 v[vgprG2LB+8], v[vgprGlobalReadOffsetB+8], s[sgprSrdB:sgprSrdB+3], 0, offen offset:0 // G -> Reg 0_0_8_0
_buffer_load_b32 v[vgprG2LB+9], v[vgprGlobalReadOffsetB+9], s[sgprSrdB:sgprSrdB+3], 0, offen offset:0 // G -> Reg 0_0_9_0
_buffer_load_b32 v[vgprG2LB+10], v[vgprGlobalReadOffsetB+10], s[sgprSrdB:sgprSrdB+3], 0, offen offset:0 // G -> Reg 0_0_10_0
_buffer_load_b32 v[vgprG2LB+11], v[vgprGlobalReadOffsetB+11], s[sgprSrdB:sgprSrdB+3], 0, offen offset:0 // G -> Reg 0_0_11_0
_buffer_load_b32 v[vgprG2LB+12], v[vgprGlobalReadOffsetB+12], s[sgprSrdB:sgprSrdB+3], 0, offen offset:0 // G -> Reg 0_0_12_0
_buffer_load_b32 v[vgprG2LB+13], v[vgprGlobalReadOffsetB+13], s[sgprSrdB:sgprSrdB+3], 0, offen offset:0 // G -> Reg 0_0_13_0
_buffer_load_b32 v[vgprG2LB+14], v[vgprGlobalReadOffsetB+14], s[sgprSrdB:sgprSrdB+3], 0, offen offset:0 // G -> Reg 0_0_14_0
_buffer_load_b32 v[vgprG2LB+15], v[vgprGlobalReadOffsetB+15], s[sgprSrdB:sgprSrdB+3], 0, offen offset:0 // G -> Reg 0_0_15_0
_buffer_load_b32 v[vgprG2LB+16], v[vgprGlobalReadOffsetB+16], s[sgprSrdB:sgprSrdB+3], 0, offen offset:0 // G -> Reg 0_0_16_0
_buffer_load_b32 v[vgprG2LB+17], v[vgprGlobalReadOffsetB+17], s[sgprSrdB:sgprSrdB+3], 0, offen offset:0 // G -> Reg 0_0_17_0
_buffer_load_b32 v[vgprG2LB+18], v[vgprGlobalReadOffsetB+18], s[sgprSrdB:sgprSrdB+3], 0, offen offset:0 // G -> Reg 0_0_18_0
_buffer_load_b32 v[vgprG2LB+19], v[vgprGlobalReadOffsetB+19], s[sgprSrdB:sgprSrdB+3], 0, offen offset:0 // G -> Reg 0_0_19_0
_buffer_load_b32 v[vgprG2LB+20], v[vgprGlobalReadOffsetB+20], s[sgprSrdB:sgprSrdB+3], 0, offen offset:0 // G -> Reg 0_0_20_0
_buffer_load_b32 v[vgprG2LB+21], v[vgprGlobalReadOffsetB+21], s[sgprSrdB:sgprSrdB+3], 0, offen offset:0 // G -> Reg 0_0_21_0
_buffer_load_b32 v[vgprG2LB+22], v[vgprGlobalReadOffsetB+22], s[sgprSrdB:sgprSrdB+3], 0, offen offset:0 // G -> Reg 0_0_22_0
_buffer_load_b32 v[vgprG2LB+23], v[vgprGlobalReadOffsetB+23], s[sgprSrdB:sgprSrdB+3], 0, offen offset:0 // G -> Reg 0_0_23_0
_buffer_load_b32 v[vgprG2LB+24], v[vgprGlobalReadOffsetB+24], s[sgprSrdB:sgprSrdB+3], 0, offen offset:0 // G -> Reg 0_0_24_0
_buffer_load_b32 v[vgprG2LB+25], v[vgprGlobalReadOffsetB+25], s[sgprSrdB:sgprSrdB+3], 0, offen offset:0 // G -> Reg 0_0_25_0
_buffer_load_b32 v[vgprG2LB+26], v[vgprGlobalReadOffsetB+26], s[sgprSrdB:sgprSrdB+3], 0, offen offset:0 // G -> Reg 0_0_26_0
_buffer_load_b32 v[vgprG2LB+27], v[vgprGlobalReadOffsetB+27], s[sgprSrdB:sgprSrdB+3], 0, offen offset:0 // G -> Reg 0_0_27_0
_buffer_load_b32 v[vgprG2LB+28], v[vgprGlobalReadOffsetB+28], s[sgprSrdB:sgprSrdB+3], 0, offen offset:0 // G -> Reg 0_0_28_0
_buffer_load_b32 v[vgprG2LB+29], v[vgprGlobalReadOffsetB+29], s[sgprSrdB:sgprSrdB+3], 0, offen offset:0 // G -> Reg 0_0_29_0
_buffer_load_b32 v[vgprG2LB+30], v[vgprGlobalReadOffsetB+30], s[sgprSrdB:sgprSrdB+3], 0, offen offset:0 // G -> Reg 0_0_30_0
_buffer_load_b32 v[vgprG2LB+31], v[vgprGlobalReadOffsetB+31], s[sgprSrdB:sgprSrdB+3], 0, offen offset:0 // G -> Reg 0_0_31_0


/* global read inc A loopL */
s_add_u32 s60, s[sgprLoopCounterL], 1              // remove pf(1)
s_cmp_eq_u32 s[sgprStaggerUIter], s60              // Is this wrapIter? (pf)
s_cselect_b32 s58, s[sgprWrapUA+0], s[sgprGlobalReadIncsA+0] // incLower <- ?
s_cselect_b32 s59, s[sgprWrapUA+1], 0              // incUpper <- ?
s_add_u32 s[sgprSrdA+0], s[sgprSrdA+0], s58        // gra SRD += inc(lower)
s_addc_u32  s[sgprSrdA+1], s[sgprSrdA+1], s59      // gra SRD += inc(upper)
s_sub_u32 s[sgprShadowLimitA+0], s[sgprShadowLimitA+0], s58 // limit -= inc)
s_subb_u32 s[sgprShadowLimitA+1], s[sgprShadowLimitA+1], s59 // limit -= inc)
s_cmp_eq_u32 s[sgprShadowLimitA+1], 0              // are we within 2^32?
s_cselect_b32 s[sgprSrdA+2], s[sgprShadowLimitA+0], BufferLimitA // Move shadow to real if we are within 2^32

/* global read inc B loopL */
s_add_u32 s60, s[sgprLoopCounterL], 1              // remove pf(1)
s_cmp_eq_u32 s[sgprStaggerUIter], s60              // Is this wrapIter? (pf)
s_cselect_b32 s58, s[sgprWrapUB+0], s[sgprGlobalReadIncsB+0] // incLower <- ?
s_cselect_b32 s59, s[sgprWrapUB+1], 0              // incUpper <- ?
s_add_u32 s[sgprSrdB+0], s[sgprSrdB+0], s58        // gra SRD += inc(lower)
s_addc_u32  s[sgprSrdB+1], s[sgprSrdB+1], s59      // gra SRD += inc(upper)
s_sub_u32 s[sgprShadowLimitB+0], s[sgprShadowLimitB+0], s58 // limit -= inc)
s_subb_u32 s[sgprShadowLimitB+1], s[sgprShadowLimitB+1], s59 // limit -= inc)
s_cmp_eq_u32 s[sgprShadowLimitB+1], 0              // are we within 2^32?
s_cselect_b32 s[sgprSrdB+2], s[sgprShadowLimitB+0], BufferLimitB // Move shadow to real if we are within 2^32


/******************************************/
/* End setupNewTile, isPap=False             */
/******************************************/

ShadowInitStart_10: // 

s_mov_b32 s[sgprSrdD+2], BufferOOB                 // 
s_mov_b32 s[sgprSrdD+3], Srd127_96                 // Set bits 127_96 in post-loop SRD

s_mov_b32 s[sgprSrdC+2], BufferOOB                 // 
s_mov_b32 s[sgprSrdC+3], Srd127_96                 // Set bits 127_96 in post-loop SRD


s_mul_i32 s58, MT1, s[sgprWorkGroup1]              // <- wg1*MT1
s_mul_hi_u32 s57, s58, s[sgprStrideC1J]            // CScale s58 by Stride
s_mul_i32 s56, s58, s[sgprStrideC1J]               // CScale s58 by Stride
s_lshl_b64 s[56:57], s[56:57], 1                   // scale by bpe
s_add_u32 s[sgprSrdC+0], s[sgprSrdC+0], s56        // add lo to SRD
s_addc_u32 s[sgprSrdC+1], s[sgprSrdC+1], s57       // add hi to SRD
s_mul_hi_u32 s57, s58, s[sgprStrideD1J]            // Scale s58 by Stride
s_mul_i32 s56, s58, s[sgprStrideD1J]               // Scale s58 by Stride
s_lshl_b64 s[56:57], s[56:57], 1                   // scale by bpe
s_add_u32 s[sgprSrdD+0], s[sgprSrdD+0], s56        // add lo to SRD
s_addc_u32 s[sgprSrdD+1], s[sgprSrdD+1], s57       // add hi to SRD

s_mul_hi_u32 s57, s[sgprWorkGroup2], s[sgprStrideCK] // CScale s[sgprWorkGroup2] by Stride
s_mul_i32 s56, s[sgprWorkGroup2], s[sgprStrideCK]  // CScale s[sgprWorkGroup2] by Stride
s_lshl_b64 s[56:57], s[56:57], 1                   // scale by bpe
s_add_u32 s[sgprSrdC+0], s[sgprSrdC+0], s56        // add lo to SRD
s_addc_u32 s[sgprSrdC+1], s[sgprSrdC+1], s57       // add hi to SRD
s_mul_hi_u32 s57, s[sgprWorkGroup2], s[sgprStrideDK] // Scale s[sgprWorkGroup2] by Stride
s_mul_i32 s56, s[sgprWorkGroup2], s[sgprStrideDK]  // Scale s[sgprWorkGroup2] by Stride
s_lshl_b64 s[56:57], s[56:57], 1                   // scale by bpe
s_add_u32 s[sgprSrdD+0], s[sgprSrdD+0], s56        // add lo to SRD
s_addc_u32 s[sgprSrdD+1], s[sgprSrdD+1], s57       // add hi to SRD



/* initC: remove C-tile 0-0 from pool */

/* initC: remove AB-tile 0-120 from pool */
v_accvgpr_write acc0, 0x0                          // initC
v_accvgpr_write acc1, 0x0                          // initC
v_accvgpr_write acc2, 0x0                          // initC
v_accvgpr_write acc3, 0x0                          // initC
v_accvgpr_write acc4, 0x0                          // initC
v_accvgpr_write acc5, 0x0                          // initC
v_accvgpr_write acc6, 0x0                          // initC
v_accvgpr_write acc7, 0x0                          // initC
v_accvgpr_write acc8, 0x0                          // initC
v_accvgpr_write acc9, 0x0                          // initC
v_accvgpr_write acc10, 0x0                         // initC
v_accvgpr_write acc11, 0x0                         // initC
v_accvgpr_write acc12, 0x0                         // initC
v_accvgpr_write acc13, 0x0                         // initC
v_accvgpr_write acc14, 0x0                         // initC
v_accvgpr_write acc15, 0x0                         // initC
v_accvgpr_write acc16, 0x0                         // initC
v_accvgpr_write acc17, 0x0                         // initC
v_accvgpr_write acc18, 0x0                         // initC
v_accvgpr_write acc19, 0x0                         // initC
v_accvgpr_write acc20, 0x0                         // initC
v_accvgpr_write acc21, 0x0                         // initC
v_accvgpr_write acc22, 0x0                         // initC
v_accvgpr_write acc23, 0x0                         // initC
v_accvgpr_write acc24, 0x0                         // initC
v_accvgpr_write acc25, 0x0                         // initC
v_accvgpr_write acc26, 0x0                         // initC
v_accvgpr_write acc27, 0x0                         // initC
v_accvgpr_write acc28, 0x0                         // initC
v_accvgpr_write acc29, 0x0                         // initC
v_accvgpr_write acc30, 0x0                         // initC
v_accvgpr_write acc31, 0x0                         // initC
v_accvgpr_write acc32, 0x0                         // initC
v_accvgpr_write acc33, 0x0                         // initC
v_accvgpr_write acc34, 0x0                         // initC
v_accvgpr_write acc35, 0x0                         // initC
v_accvgpr_write acc36, 0x0                         // initC
v_accvgpr_write acc37, 0x0                         // initC
v_accvgpr_write acc38, 0x0                         // initC
v_accvgpr_write acc39, 0x0                         // initC
v_accvgpr_write acc40, 0x0                         // initC
v_accvgpr_write acc41, 0x0                         // initC
v_accvgpr_write acc42, 0x0                         // initC
v_accvgpr_write acc43, 0x0                         // initC
v_accvgpr_write acc44, 0x0                         // initC
v_accvgpr_write acc45, 0x0                         // initC
v_accvgpr_write acc46, 0x0                         // initC
v_accvgpr_write acc47, 0x0                         // initC
v_accvgpr_write acc48, 0x0                         // initC
v_accvgpr_write acc49, 0x0                         // initC
v_accvgpr_write acc50, 0x0                         // initC
v_accvgpr_write acc51, 0x0                         // initC
v_accvgpr_write acc52, 0x0                         // initC
v_accvgpr_write acc53, 0x0                         // initC
v_accvgpr_write acc54, 0x0                         // initC
v_accvgpr_write acc55, 0x0                         // initC
v_accvgpr_write acc56, 0x0                         // initC
v_accvgpr_write acc57, 0x0                         // initC
v_accvgpr_write acc58, 0x0                         // initC
v_accvgpr_write acc59, 0x0                         // initC
v_accvgpr_write acc60, 0x0                         // initC
v_accvgpr_write acc61, 0x0                         // initC
v_accvgpr_write acc62, 0x0                         // initC
v_accvgpr_write acc63, 0x0                         // initC
v_accvgpr_write acc64, 0x0                         // initC
v_accvgpr_write acc65, 0x0                         // initC
v_accvgpr_write acc66, 0x0                         // initC
v_accvgpr_write acc67, 0x0                         // initC
v_accvgpr_write acc68, 0x0                         // initC
v_accvgpr_write acc69, 0x0                         // initC
v_accvgpr_write acc70, 0x0                         // initC
v_accvgpr_write acc71, 0x0                         // initC
v_accvgpr_write acc72, 0x0                         // initC
v_accvgpr_write acc73, 0x0                         // initC
v_accvgpr_write acc74, 0x0                         // initC
v_accvgpr_write acc75, 0x0                         // initC
v_accvgpr_write acc76, 0x0                         // initC
v_accvgpr_write acc77, 0x0                         // initC
v_accvgpr_write acc78, 0x0                         // initC
v_accvgpr_write acc79, 0x0                         // initC
v_accvgpr_write acc80, 0x0                         // initC
v_accvgpr_write acc81, 0x0                         // initC
v_accvgpr_write acc82, 0x0                         // initC
v_accvgpr_write acc83, 0x0                         // initC
v_accvgpr_write acc84, 0x0                         // initC
v_accvgpr_write acc85, 0x0                         // initC
v_accvgpr_write acc86, 0x0                         // initC
v_accvgpr_write acc87, 0x0                         // initC
v_accvgpr_write acc88, 0x0                         // initC
v_accvgpr_write acc89, 0x0                         // initC
v_accvgpr_write acc90, 0x0                         // initC
v_accvgpr_write acc91, 0x0                         // initC
v_accvgpr_write acc92, 0x0                         // initC
v_accvgpr_write acc93, 0x0                         // initC
v_accvgpr_write acc94, 0x0                         // initC
v_accvgpr_write acc95, 0x0                         // initC
v_accvgpr_write acc96, 0x0                         // initC
v_accvgpr_write acc97, 0x0                         // initC
v_accvgpr_write acc98, 0x0                         // initC
v_accvgpr_write acc99, 0x0                         // initC
v_accvgpr_write acc100, 0x0                        // initC
v_accvgpr_write acc101, 0x0                        // initC
v_accvgpr_write acc102, 0x0                        // initC
v_accvgpr_write acc103, 0x0                        // initC
v_accvgpr_write acc104, 0x0                        // initC
v_accvgpr_write acc105, 0x0                        // initC
v_accvgpr_write acc106, 0x0                        // initC
v_accvgpr_write acc107, 0x0                        // initC
v_accvgpr_write acc108, 0x0                        // initC
v_accvgpr_write acc109, 0x0                        // initC
v_accvgpr_write acc110, 0x0                        // initC
v_accvgpr_write acc111, 0x0                        // initC
v_accvgpr_write acc112, 0x0                        // initC
v_accvgpr_write acc113, 0x0                        // initC
v_accvgpr_write acc114, 0x0                        // initC
v_accvgpr_write acc115, 0x0                        // initC
v_accvgpr_write acc116, 0x0                        // initC
v_accvgpr_write acc117, 0x0                        // initC
v_accvgpr_write acc118, 0x0                        // initC
v_accvgpr_write acc119, 0x0                        // initC
v_accvgpr_write acc120, 0x0                        // initC
v_accvgpr_write acc121, 0x0                        // initC
v_accvgpr_write acc122, 0x0                        // initC
v_accvgpr_write acc123, 0x0                        // initC
v_accvgpr_write acc124, 0x0                        // initC
v_accvgpr_write acc125, 0x0                        // initC
v_accvgpr_write acc126, 0x0                        // initC
v_accvgpr_write acc127, 0x0                        // initC
v_accvgpr_write acc128, 0x0                        // initC
v_accvgpr_write acc129, 0x0                        // initC
v_accvgpr_write acc130, 0x0                        // initC
v_accvgpr_write acc131, 0x0                        // initC
v_accvgpr_write acc132, 0x0                        // initC
v_accvgpr_write acc133, 0x0                        // initC
v_accvgpr_write acc134, 0x0                        // initC
v_accvgpr_write acc135, 0x0                        // initC
v_accvgpr_write acc136, 0x0                        // initC
v_accvgpr_write acc137, 0x0                        // initC
v_accvgpr_write acc138, 0x0                        // initC
v_accvgpr_write acc139, 0x0                        // initC
v_accvgpr_write acc140, 0x0                        // initC
v_accvgpr_write acc141, 0x0                        // initC
v_accvgpr_write acc142, 0x0                        // initC
v_accvgpr_write acc143, 0x0                        // initC
v_accvgpr_write acc144, 0x0                        // initC
v_accvgpr_write acc145, 0x0                        // initC
v_accvgpr_write acc146, 0x0                        // initC
v_accvgpr_write acc147, 0x0                        // initC
v_accvgpr_write acc148, 0x0                        // initC
v_accvgpr_write acc149, 0x0                        // initC
v_accvgpr_write acc150, 0x0                        // initC
v_accvgpr_write acc151, 0x0                        // initC
v_accvgpr_write acc152, 0x0                        // initC
v_accvgpr_write acc153, 0x0                        // initC
v_accvgpr_write acc154, 0x0                        // initC
v_accvgpr_write acc155, 0x0                        // initC
v_accvgpr_write acc156, 0x0                        // initC
v_accvgpr_write acc157, 0x0                        // initC
v_accvgpr_write acc158, 0x0                        // initC
v_accvgpr_write acc159, 0x0                        // initC
v_accvgpr_write acc160, 0x0                        // initC
v_accvgpr_write acc161, 0x0                        // initC
v_accvgpr_write acc162, 0x0                        // initC
v_accvgpr_write acc163, 0x0                        // initC
v_accvgpr_write acc164, 0x0                        // initC
v_accvgpr_write acc165, 0x0                        // initC
v_accvgpr_write acc166, 0x0                        // initC
v_accvgpr_write acc167, 0x0                        // initC
v_accvgpr_write acc168, 0x0                        // initC
v_accvgpr_write acc169, 0x0                        // initC
v_accvgpr_write acc170, 0x0                        // initC
v_accvgpr_write acc171, 0x0                        // initC
v_accvgpr_write acc172, 0x0                        // initC
v_accvgpr_write acc173, 0x0                        // initC
v_accvgpr_write acc174, 0x0                        // initC
v_accvgpr_write acc175, 0x0                        // initC
v_accvgpr_write acc176, 0x0                        // initC
v_accvgpr_write acc177, 0x0                        // initC
v_accvgpr_write acc178, 0x0                        // initC
v_accvgpr_write acc179, 0x0                        // initC
v_accvgpr_write acc180, 0x0                        // initC
v_accvgpr_write acc181, 0x0                        // initC
v_accvgpr_write acc182, 0x0                        // initC
v_accvgpr_write acc183, 0x0                        // initC
v_accvgpr_write acc184, 0x0                        // initC
v_accvgpr_write acc185, 0x0                        // initC
v_accvgpr_write acc186, 0x0                        // initC
v_accvgpr_write acc187, 0x0                        // initC
v_accvgpr_write acc188, 0x0                        // initC
v_accvgpr_write acc189, 0x0                        // initC
v_accvgpr_write acc190, 0x0                        // initC
v_accvgpr_write acc191, 0x0                        // initC
v_accvgpr_write acc192, 0x0                        // initC
v_accvgpr_write acc193, 0x0                        // initC
v_accvgpr_write acc194, 0x0                        // initC
v_accvgpr_write acc195, 0x0                        // initC
v_accvgpr_write acc196, 0x0                        // initC
v_accvgpr_write acc197, 0x0                        // initC
v_accvgpr_write acc198, 0x0                        // initC
v_accvgpr_write acc199, 0x0                        // initC
v_accvgpr_write acc200, 0x0                        // initC
v_accvgpr_write acc201, 0x0                        // initC
v_accvgpr_write acc202, 0x0                        // initC
v_accvgpr_write acc203, 0x0                        // initC
v_accvgpr_write acc204, 0x0                        // initC
v_accvgpr_write acc205, 0x0                        // initC
v_accvgpr_write acc206, 0x0                        // initC
v_accvgpr_write acc207, 0x0                        // initC
v_accvgpr_write acc208, 0x0                        // initC
v_accvgpr_write acc209, 0x0                        // initC
v_accvgpr_write acc210, 0x0                        // initC
v_accvgpr_write acc211, 0x0                        // initC
v_accvgpr_write acc212, 0x0                        // initC
v_accvgpr_write acc213, 0x0                        // initC
v_accvgpr_write acc214, 0x0                        // initC
v_accvgpr_write acc215, 0x0                        // initC
v_accvgpr_write acc216, 0x0                        // initC
v_accvgpr_write acc217, 0x0                        // initC
v_accvgpr_write acc218, 0x0                        // initC
v_accvgpr_write acc219, 0x0                        // initC
v_accvgpr_write acc220, 0x0                        // initC
v_accvgpr_write acc221, 0x0                        // initC
v_accvgpr_write acc222, 0x0                        // initC
v_accvgpr_write acc223, 0x0                        // initC

s_cmp_eq_u32 s[sgprLoopCounterL], 0                // at last iteration?

/* after InitC, skip to end of prefetch last iter if numIter==0 */
s_cbranch_scc0 label_NoBranch_11                   // Only branch on scc1
s_getpc_B64 s[56:57]                               // addr of next instr
s_add_i32 s58, PrefetchGlobalLastIterEnd_5, 0x4    // target branch offset
s_add_u32 s56, s56, s58                            // add target branch offset
s_addc_u32 s57, s57, 0                             // add high and carry
s_setpc_b64 s[56:57]                               // branch to PrefetchGlobalLastIterEnd_5
label_NoBranch_11:

s_waitcnt vmcnt(0)                                 // lgkmcnt=-1 vmcnt=0 8wait for global read


/* local write a */
_ds_store_b32 v[vgprLocalWriteAddrA], v[vgprG2LA+0] offset:0 // lwoA_0_0_0_0 = (0*LSCA)*(MT0I+PAD) + (0*LSPA) = 0
_ds_store_b32 v[vgprLocalWriteAddrA], v[vgprG2LA+1] offset:1088 // lwoA_0_0_1_0 = (0*LSCA)*(MT0I+PAD) + (1*LSPA) = 1088
_ds_store_b32 v[vgprLocalWriteAddrA], v[vgprG2LA+2] offset:2176 // lwoA_0_0_2_0 = (0*LSCA)*(MT0I+PAD) + (2*LSPA) = 2176
_ds_store_b32 v[vgprLocalWriteAddrA], v[vgprG2LA+3] offset:3264 // lwoA_0_0_3_0 = (0*LSCA)*(MT0I+PAD) + (3*LSPA) = 3264
_ds_store_b32 v[vgprLocalWriteAddrA], v[vgprG2LA+4] offset:4352 // lwoA_0_0_4_0 = (0*LSCA)*(MT0I+PAD) + (4*LSPA) = 4352
_ds_store_b32 v[vgprLocalWriteAddrA], v[vgprG2LA+5] offset:5440 // lwoA_0_0_5_0 = (0*LSCA)*(MT0I+PAD) + (5*LSPA) = 5440
_ds_store_b32 v[vgprLocalWriteAddrA], v[vgprG2LA+6] offset:6528 // lwoA_0_0_6_0 = (0*LSCA)*(MT0I+PAD) + (6*LSPA) = 6528
_ds_store_b32 v[vgprLocalWriteAddrA], v[vgprG2LA+7] offset:7616 // lwoA_0_0_7_0 = (0*LSCA)*(MT0I+PAD) + (7*LSPA) = 7616
_ds_store_b32 v[vgprLocalWriteAddrA], v[vgprG2LA+8] offset:8704 // lwoA_0_0_8_0 = (0*LSCA)*(MT0I+PAD) + (8*LSPA) = 8704
_ds_store_b32 v[vgprLocalWriteAddrA], v[vgprG2LA+9] offset:9792 // lwoA_0_0_9_0 = (0*LSCA)*(MT0I+PAD) + (9*LSPA) = 9792
_ds_store_b32 v[vgprLocalWriteAddrA], v[vgprG2LA+10] offset:10880 // lwoA_0_0_10_0 = (0*LSCA)*(MT0I+PAD) + (10*LSPA) = 10880
_ds_store_b32 v[vgprLocalWriteAddrA], v[vgprG2LA+11] offset:11968 // lwoA_0_0_11_0 = (0*LSCA)*(MT0I+PAD) + (11*LSPA) = 11968
_ds_store_b32 v[vgprLocalWriteAddrA], v[vgprG2LA+12] offset:13056 // lwoA_0_0_12_0 = (0*LSCA)*(MT0I+PAD) + (12*LSPA) = 13056
_ds_store_b32 v[vgprLocalWriteAddrA], v[vgprG2LA+13] offset:14144 // lwoA_0_0_13_0 = (0*LSCA)*(MT0I+PAD) + (13*LSPA) = 14144
_ds_store_b32 v[vgprLocalWriteAddrA], v[vgprG2LA+14] offset:15232 // lwoA_0_0_14_0 = (0*LSCA)*(MT0I+PAD) + (14*LSPA) = 15232
_ds_store_b32 v[vgprLocalWriteAddrA], v[vgprG2LA+15] offset:16320 // lwoA_0_0_15_0 = (0*LSCA)*(MT0I+PAD) + (15*LSPA) = 16320
_ds_store_b32 v[vgprLocalWriteAddrA], v[vgprG2LA+16] offset:17408 // lwoA_0_0_16_0 = (0*LSCA)*(MT0I+PAD) + (16*LSPA) = 17408
_ds_store_b32 v[vgprLocalWriteAddrA], v[vgprG2LA+17] offset:18496 // lwoA_0_0_17_0 = (0*LSCA)*(MT0I+PAD) + (17*LSPA) = 18496
_ds_store_b32 v[vgprLocalWriteAddrA], v[vgprG2LA+18] offset:19584 // lwoA_0_0_18_0 = (0*LSCA)*(MT0I+PAD) + (18*LSPA) = 19584
_ds_store_b32 v[vgprLocalWriteAddrA], v[vgprG2LA+19] offset:20672 // lwoA_0_0_19_0 = (0*LSCA)*(MT0I+PAD) + (19*LSPA) = 20672
_ds_store_b32 v[vgprLocalWriteAddrA], v[vgprG2LA+20] offset:21760 // lwoA_0_0_20_0 = (0*LSCA)*(MT0I+PAD) + (20*LSPA) = 21760
_ds_store_b32 v[vgprLocalWriteAddrA], v[vgprG2LA+21] offset:22848 // lwoA_0_0_21_0 = (0*LSCA)*(MT0I+PAD) + (21*LSPA) = 22848
_ds_store_b32 v[vgprLocalWriteAddrA], v[vgprG2LA+22] offset:23936 // lwoA_0_0_22_0 = (0*LSCA)*(MT0I+PAD) + (22*LSPA) = 23936
_ds_store_b32 v[vgprLocalWriteAddrA], v[vgprG2LA+23] offset:25024 // lwoA_0_0_23_0 = (0*LSCA)*(MT0I+PAD) + (23*LSPA) = 25024
_ds_store_b32 v[vgprLocalWriteAddrA], v[vgprG2LA+24] offset:26112 // lwoA_0_0_24_0 = (0*LSCA)*(MT0I+PAD) + (24*LSPA) = 26112
_ds_store_b32 v[vgprLocalWriteAddrA], v[vgprG2LA+25] offset:27200 // lwoA_0_0_25_0 = (0*LSCA)*(MT0I+PAD) + (25*LSPA) = 27200
_ds_store_b32 v[vgprLocalWriteAddrA], v[vgprG2LA+26] offset:28288 // lwoA_0_0_26_0 = (0*LSCA)*(MT0I+PAD) + (26*LSPA) = 28288
_ds_store_b32 v[vgprLocalWriteAddrA], v[vgprG2LA+27] offset:29376 // lwoA_0_0_27_0 = (0*LSCA)*(MT0I+PAD) + (27*LSPA) = 29376

/* local write b */
_ds_store_b32 v[vgprLocalWriteAddrB], v[vgprG2LB+0] offset:0 // lwoB_0_0_0_0 = (0*LSCB)*(MT1J+PAD) + (0*LSPB) = 0
_ds_store_b32 v[vgprLocalWriteAddrB], v[vgprG2LB+1] offset:1088 // lwoB_0_0_1_0 = (0*LSCB)*(MT1J+PAD) + (1*LSPB) = 1088
_ds_store_b32 v[vgprLocalWriteAddrB], v[vgprG2LB+2] offset:2176 // lwoB_0_0_2_0 = (0*LSCB)*(MT1J+PAD) + (2*LSPB) = 2176
_ds_store_b32 v[vgprLocalWriteAddrB], v[vgprG2LB+3] offset:3264 // lwoB_0_0_3_0 = (0*LSCB)*(MT1J+PAD) + (3*LSPB) = 3264
_ds_store_b32 v[vgprLocalWriteAddrB], v[vgprG2LB+4] offset:4352 // lwoB_0_0_4_0 = (0*LSCB)*(MT1J+PAD) + (4*LSPB) = 4352
_ds_store_b32 v[vgprLocalWriteAddrB], v[vgprG2LB+5] offset:5440 // lwoB_0_0_5_0 = (0*LSCB)*(MT1J+PAD) + (5*LSPB) = 5440
_ds_store_b32 v[vgprLocalWriteAddrB], v[vgprG2LB+6] offset:6528 // lwoB_0_0_6_0 = (0*LSCB)*(MT1J+PAD) + (6*LSPB) = 6528
_ds_store_b32 v[vgprLocalWriteAddrB], v[vgprG2LB+7] offset:7616 // lwoB_0_0_7_0 = (0*LSCB)*(MT1J+PAD) + (7*LSPB) = 7616
_ds_store_b32 v[vgprLocalWriteAddrB], v[vgprG2LB+8] offset:8704 // lwoB_0_0_8_0 = (0*LSCB)*(MT1J+PAD) + (8*LSPB) = 8704
_ds_store_b32 v[vgprLocalWriteAddrB], v[vgprG2LB+9] offset:9792 // lwoB_0_0_9_0 = (0*LSCB)*(MT1J+PAD) + (9*LSPB) = 9792
_ds_store_b32 v[vgprLocalWriteAddrB], v[vgprG2LB+10] offset:10880 // lwoB_0_0_10_0 = (0*LSCB)*(MT1J+PAD) + (10*LSPB) = 10880
_ds_store_b32 v[vgprLocalWriteAddrB], v[vgprG2LB+11] offset:11968 // lwoB_0_0_11_0 = (0*LSCB)*(MT1J+PAD) + (11*LSPB) = 11968
_ds_store_b32 v[vgprLocalWriteAddrB], v[vgprG2LB+12] offset:13056 // lwoB_0_0_12_0 = (0*LSCB)*(MT1J+PAD) + (12*LSPB) = 13056
_ds_store_b32 v[vgprLocalWriteAddrB], v[vgprG2LB+13] offset:14144 // lwoB_0_0_13_0 = (0*LSCB)*(MT1J+PAD) + (13*LSPB) = 14144
_ds_store_b32 v[vgprLocalWriteAddrB], v[vgprG2LB+14] offset:15232 // lwoB_0_0_14_0 = (0*LSCB)*(MT1J+PAD) + (14*LSPB) = 15232
_ds_store_b32 v[vgprLocalWriteAddrB], v[vgprG2LB+15] offset:16320 // lwoB_0_0_15_0 = (0*LSCB)*(MT1J+PAD) + (15*LSPB) = 16320
_ds_store_b32 v[vgprLocalWriteAddrB], v[vgprG2LB+16] offset:17408 // lwoB_0_0_16_0 = (0*LSCB)*(MT1J+PAD) + (16*LSPB) = 17408
_ds_store_b32 v[vgprLocalWriteAddrB], v[vgprG2LB+17] offset:18496 // lwoB_0_0_17_0 = (0*LSCB)*(MT1J+PAD) + (17*LSPB) = 18496
_ds_store_b32 v[vgprLocalWriteAddrB], v[vgprG2LB+18] offset:19584 // lwoB_0_0_18_0 = (0*LSCB)*(MT1J+PAD) + (18*LSPB) = 19584
_ds_store_b32 v[vgprLocalWriteAddrB], v[vgprG2LB+19] offset:20672 // lwoB_0_0_19_0 = (0*LSCB)*(MT1J+PAD) + (19*LSPB) = 20672
_ds_store_b32 v[vgprLocalWriteAddrB], v[vgprG2LB+20] offset:21760 // lwoB_0_0_20_0 = (0*LSCB)*(MT1J+PAD) + (20*LSPB) = 21760
_ds_store_b32 v[vgprLocalWriteAddrB], v[vgprG2LB+21] offset:22848 // lwoB_0_0_21_0 = (0*LSCB)*(MT1J+PAD) + (21*LSPB) = 22848
_ds_store_b32 v[vgprLocalWriteAddrB], v[vgprG2LB+22] offset:23936 // lwoB_0_0_22_0 = (0*LSCB)*(MT1J+PAD) + (22*LSPB) = 23936
_ds_store_b32 v[vgprLocalWriteAddrB], v[vgprG2LB+23] offset:25024 // lwoB_0_0_23_0 = (0*LSCB)*(MT1J+PAD) + (23*LSPB) = 25024
_ds_store_b32 v[vgprLocalWriteAddrB], v[vgprG2LB+24] offset:26112 // lwoB_0_0_24_0 = (0*LSCB)*(MT1J+PAD) + (24*LSPB) = 26112
_ds_store_b32 v[vgprLocalWriteAddrB], v[vgprG2LB+25] offset:27200 // lwoB_0_0_25_0 = (0*LSCB)*(MT1J+PAD) + (25*LSPB) = 27200
_ds_store_b32 v[vgprLocalWriteAddrB], v[vgprG2LB+26] offset:28288 // lwoB_0_0_26_0 = (0*LSCB)*(MT1J+PAD) + (26*LSPB) = 28288
_ds_store_b32 v[vgprLocalWriteAddrB], v[vgprG2LB+27] offset:29376 // lwoB_0_0_27_0 = (0*LSCB)*(MT1J+PAD) + (27*LSPB) = 29376
_ds_store_b32 v[vgprLocalWriteAddrB], v[vgprG2LB+28] offset:30464 // lwoB_0_0_28_0 = (0*LSCB)*(MT1J+PAD) + (28*LSPB) = 30464
_ds_store_b32 v[vgprLocalWriteAddrB], v[vgprG2LB+29] offset:31552 // lwoB_0_0_29_0 = (0*LSCB)*(MT1J+PAD) + (29*LSPB) = 31552
_ds_store_b32 v[vgprLocalWriteAddrB], v[vgprG2LB+30] offset:32640 // lwoB_0_0_30_0 = (0*LSCB)*(MT1J+PAD) + (30*LSPB) = 32640
_ds_store_b32 v[vgprLocalWriteAddrB], v[vgprG2LB+31] offset:33728 // lwoB_0_0_31_0 = (0*LSCB)*(MT1J+PAD) + (31*LSPB) = 33728


/* local write swap a */



/* local write swap b */


	;; [unrolled: 1-line block ×4, first 2 shown]
s_cmp_eq_u32 s[sgprLoopCounterL] 0x1               // PGR=2 but only 1 loop
s_cbranch_scc1 label_0012                          // PGR=2 but only 1 loop


_buffer_load_b32 v[vgprG2LA+0], v[vgprGlobalReadOffsetA+0], s[sgprSrdA:sgprSrdA+3], 0, offen offset:0 // G -> Reg 0_0_0_0
_buffer_load_b32 v[vgprG2LA+1], v[vgprGlobalReadOffsetA+1], s[sgprSrdA:sgprSrdA+3], 0, offen offset:0 // G -> Reg 0_0_1_0
_buffer_load_b32 v[vgprG2LA+2], v[vgprGlobalReadOffsetA+2], s[sgprSrdA:sgprSrdA+3], 0, offen offset:0 // G -> Reg 0_0_2_0
_buffer_load_b32 v[vgprG2LA+3], v[vgprGlobalReadOffsetA+3], s[sgprSrdA:sgprSrdA+3], 0, offen offset:0 // G -> Reg 0_0_3_0
_buffer_load_b32 v[vgprG2LA+4], v[vgprGlobalReadOffsetA+4], s[sgprSrdA:sgprSrdA+3], 0, offen offset:0 // G -> Reg 0_0_4_0
_buffer_load_b32 v[vgprG2LA+5], v[vgprGlobalReadOffsetA+5], s[sgprSrdA:sgprSrdA+3], 0, offen offset:0 // G -> Reg 0_0_5_0
_buffer_load_b32 v[vgprG2LA+6], v[vgprGlobalReadOffsetA+6], s[sgprSrdA:sgprSrdA+3], 0, offen offset:0 // G -> Reg 0_0_6_0
_buffer_load_b32 v[vgprG2LA+7], v[vgprGlobalReadOffsetA+7], s[sgprSrdA:sgprSrdA+3], 0, offen offset:0 // G -> Reg 0_0_7_0
_buffer_load_b32 v[vgprG2LA+8], v[vgprGlobalReadOffsetA+8], s[sgprSrdA:sgprSrdA+3], 0, offen offset:0 // G -> Reg 0_0_8_0
_buffer_load_b32 v[vgprG2LA+9], v[vgprGlobalReadOffsetA+9], s[sgprSrdA:sgprSrdA+3], 0, offen offset:0 // G -> Reg 0_0_9_0
_buffer_load_b32 v[vgprG2LA+10], v[vgprGlobalReadOffsetA+10], s[sgprSrdA:sgprSrdA+3], 0, offen offset:0 // G -> Reg 0_0_10_0
_buffer_load_b32 v[vgprG2LA+11], v[vgprGlobalReadOffsetA+11], s[sgprSrdA:sgprSrdA+3], 0, offen offset:0 // G -> Reg 0_0_11_0
_buffer_load_b32 v[vgprG2LA+12], v[vgprGlobalReadOffsetA+12], s[sgprSrdA:sgprSrdA+3], 0, offen offset:0 // G -> Reg 0_0_12_0
_buffer_load_b32 v[vgprG2LA+13], v[vgprGlobalReadOffsetA+13], s[sgprSrdA:sgprSrdA+3], 0, offen offset:0 // G -> Reg 0_0_13_0
_buffer_load_b32 v[vgprG2LA+14], v[vgprGlobalReadOffsetA+14], s[sgprSrdA:sgprSrdA+3], 0, offen offset:0 // G -> Reg 0_0_14_0
_buffer_load_b32 v[vgprG2LA+15], v[vgprGlobalReadOffsetA+15], s[sgprSrdA:sgprSrdA+3], 0, offen offset:0 // G -> Reg 0_0_15_0
_buffer_load_b32 v[vgprG2LA+16], v[vgprGlobalReadOffsetA+16], s[sgprSrdA:sgprSrdA+3], 0, offen offset:0 // G -> Reg 0_0_16_0
_buffer_load_b32 v[vgprG2LA+17], v[vgprGlobalReadOffsetA+17], s[sgprSrdA:sgprSrdA+3], 0, offen offset:0 // G -> Reg 0_0_17_0
_buffer_load_b32 v[vgprG2LA+18], v[vgprGlobalReadOffsetA+18], s[sgprSrdA:sgprSrdA+3], 0, offen offset:0 // G -> Reg 0_0_18_0
_buffer_load_b32 v[vgprG2LA+19], v[vgprGlobalReadOffsetA+19], s[sgprSrdA:sgprSrdA+3], 0, offen offset:0 // G -> Reg 0_0_19_0
_buffer_load_b32 v[vgprG2LA+20], v[vgprGlobalReadOffsetA+20], s[sgprSrdA:sgprSrdA+3], 0, offen offset:0 // G -> Reg 0_0_20_0
_buffer_load_b32 v[vgprG2LA+21], v[vgprGlobalReadOffsetA+21], s[sgprSrdA:sgprSrdA+3], 0, offen offset:0 // G -> Reg 0_0_21_0
_buffer_load_b32 v[vgprG2LA+22], v[vgprGlobalReadOffsetA+22], s[sgprSrdA:sgprSrdA+3], 0, offen offset:0 // G -> Reg 0_0_22_0
_buffer_load_b32 v[vgprG2LA+23], v[vgprGlobalReadOffsetA+23], s[sgprSrdA:sgprSrdA+3], 0, offen offset:0 // G -> Reg 0_0_23_0
_buffer_load_b32 v[vgprG2LA+24], v[vgprGlobalReadOffsetA+24], s[sgprSrdA:sgprSrdA+3], 0, offen offset:0 // G -> Reg 0_0_24_0
_buffer_load_b32 v[vgprG2LA+25], v[vgprGlobalReadOffsetA+25], s[sgprSrdA:sgprSrdA+3], 0, offen offset:0 // G -> Reg 0_0_25_0
_buffer_load_b32 v[vgprG2LA+26], v[vgprGlobalReadOffsetA+26], s[sgprSrdA:sgprSrdA+3], 0, offen offset:0 // G -> Reg 0_0_26_0
_buffer_load_b32 v[vgprG2LA+27], v[vgprGlobalReadOffsetA+27], s[sgprSrdA:sgprSrdA+3], 0, offen offset:0 // G -> Reg 0_0_27_0


_buffer_load_b32 v[vgprG2LB+0], v[vgprGlobalReadOffsetB+0], s[sgprSrdB:sgprSrdB+3], 0, offen offset:0 // G -> Reg 0_0_0_0
_buffer_load_b32 v[vgprG2LB+1], v[vgprGlobalReadOffsetB+1], s[sgprSrdB:sgprSrdB+3], 0, offen offset:0 // G -> Reg 0_0_1_0
_buffer_load_b32 v[vgprG2LB+2], v[vgprGlobalReadOffsetB+2], s[sgprSrdB:sgprSrdB+3], 0, offen offset:0 // G -> Reg 0_0_2_0
_buffer_load_b32 v[vgprG2LB+3], v[vgprGlobalReadOffsetB+3], s[sgprSrdB:sgprSrdB+3], 0, offen offset:0 // G -> Reg 0_0_3_0
_buffer_load_b32 v[vgprG2LB+4], v[vgprGlobalReadOffsetB+4], s[sgprSrdB:sgprSrdB+3], 0, offen offset:0 // G -> Reg 0_0_4_0
_buffer_load_b32 v[vgprG2LB+5], v[vgprGlobalReadOffsetB+5], s[sgprSrdB:sgprSrdB+3], 0, offen offset:0 // G -> Reg 0_0_5_0
_buffer_load_b32 v[vgprG2LB+6], v[vgprGlobalReadOffsetB+6], s[sgprSrdB:sgprSrdB+3], 0, offen offset:0 // G -> Reg 0_0_6_0
_buffer_load_b32 v[vgprG2LB+7], v[vgprGlobalReadOffsetB+7], s[sgprSrdB:sgprSrdB+3], 0, offen offset:0 // G -> Reg 0_0_7_0
_buffer_load_b32 v[vgprG2LB+8], v[vgprGlobalReadOffsetB+8], s[sgprSrdB:sgprSrdB+3], 0, offen offset:0 // G -> Reg 0_0_8_0
_buffer_load_b32 v[vgprG2LB+9], v[vgprGlobalReadOffsetB+9], s[sgprSrdB:sgprSrdB+3], 0, offen offset:0 // G -> Reg 0_0_9_0
_buffer_load_b32 v[vgprG2LB+10], v[vgprGlobalReadOffsetB+10], s[sgprSrdB:sgprSrdB+3], 0, offen offset:0 // G -> Reg 0_0_10_0
_buffer_load_b32 v[vgprG2LB+11], v[vgprGlobalReadOffsetB+11], s[sgprSrdB:sgprSrdB+3], 0, offen offset:0 // G -> Reg 0_0_11_0
_buffer_load_b32 v[vgprG2LB+12], v[vgprGlobalReadOffsetB+12], s[sgprSrdB:sgprSrdB+3], 0, offen offset:0 // G -> Reg 0_0_12_0
_buffer_load_b32 v[vgprG2LB+13], v[vgprGlobalReadOffsetB+13], s[sgprSrdB:sgprSrdB+3], 0, offen offset:0 // G -> Reg 0_0_13_0
_buffer_load_b32 v[vgprG2LB+14], v[vgprGlobalReadOffsetB+14], s[sgprSrdB:sgprSrdB+3], 0, offen offset:0 // G -> Reg 0_0_14_0
_buffer_load_b32 v[vgprG2LB+15], v[vgprGlobalReadOffsetB+15], s[sgprSrdB:sgprSrdB+3], 0, offen offset:0 // G -> Reg 0_0_15_0
_buffer_load_b32 v[vgprG2LB+16], v[vgprGlobalReadOffsetB+16], s[sgprSrdB:sgprSrdB+3], 0, offen offset:0 // G -> Reg 0_0_16_0
_buffer_load_b32 v[vgprG2LB+17], v[vgprGlobalReadOffsetB+17], s[sgprSrdB:sgprSrdB+3], 0, offen offset:0 // G -> Reg 0_0_17_0
_buffer_load_b32 v[vgprG2LB+18], v[vgprGlobalReadOffsetB+18], s[sgprSrdB:sgprSrdB+3], 0, offen offset:0 // G -> Reg 0_0_18_0
_buffer_load_b32 v[vgprG2LB+19], v[vgprGlobalReadOffsetB+19], s[sgprSrdB:sgprSrdB+3], 0, offen offset:0 // G -> Reg 0_0_19_0
_buffer_load_b32 v[vgprG2LB+20], v[vgprGlobalReadOffsetB+20], s[sgprSrdB:sgprSrdB+3], 0, offen offset:0 // G -> Reg 0_0_20_0
_buffer_load_b32 v[vgprG2LB+21], v[vgprGlobalReadOffsetB+21], s[sgprSrdB:sgprSrdB+3], 0, offen offset:0 // G -> Reg 0_0_21_0
_buffer_load_b32 v[vgprG2LB+22], v[vgprGlobalReadOffsetB+22], s[sgprSrdB:sgprSrdB+3], 0, offen offset:0 // G -> Reg 0_0_22_0
_buffer_load_b32 v[vgprG2LB+23], v[vgprGlobalReadOffsetB+23], s[sgprSrdB:sgprSrdB+3], 0, offen offset:0 // G -> Reg 0_0_23_0
_buffer_load_b32 v[vgprG2LB+24], v[vgprGlobalReadOffsetB+24], s[sgprSrdB:sgprSrdB+3], 0, offen offset:0 // G -> Reg 0_0_24_0
_buffer_load_b32 v[vgprG2LB+25], v[vgprGlobalReadOffsetB+25], s[sgprSrdB:sgprSrdB+3], 0, offen offset:0 // G -> Reg 0_0_25_0
_buffer_load_b32 v[vgprG2LB+26], v[vgprGlobalReadOffsetB+26], s[sgprSrdB:sgprSrdB+3], 0, offen offset:0 // G -> Reg 0_0_26_0
_buffer_load_b32 v[vgprG2LB+27], v[vgprGlobalReadOffsetB+27], s[sgprSrdB:sgprSrdB+3], 0, offen offset:0 // G -> Reg 0_0_27_0
_buffer_load_b32 v[vgprG2LB+28], v[vgprGlobalReadOffsetB+28], s[sgprSrdB:sgprSrdB+3], 0, offen offset:0 // G -> Reg 0_0_28_0
_buffer_load_b32 v[vgprG2LB+29], v[vgprGlobalReadOffsetB+29], s[sgprSrdB:sgprSrdB+3], 0, offen offset:0 // G -> Reg 0_0_29_0
_buffer_load_b32 v[vgprG2LB+30], v[vgprGlobalReadOffsetB+30], s[sgprSrdB:sgprSrdB+3], 0, offen offset:0 // G -> Reg 0_0_30_0
_buffer_load_b32 v[vgprG2LB+31], v[vgprGlobalReadOffsetB+31], s[sgprSrdB:sgprSrdB+3], 0, offen offset:0 // G -> Reg 0_0_31_0

label_0012:                                        // 

s_waitcnt lgkmcnt(0)                               // lgkmcnt=0 vmcnt=-10prefetch wait for local write

// Skip force waitcnt0
s_barrier //


/* local read prefetch a */

_ds_load_b64 v[vgprValuA_X0_I0+0:vgprValuA_X0_I0+0+1], v[vgprLocalReadAddrA] offset:0 // L -> Reg lro=0 swapByteOffset=0 ti=32 vIdx=0 rIdx=0 oIdx=0 buffer=0 iui=0
_ds_load_b64 v[vgprValuA_X0_I0+2:vgprValuA_X0_I0+2+1], v[vgprLocalReadAddrA] offset:4352 // L -> Reg lro=0 swapByteOffset=0 ti=32 vIdx=1 rIdx=0 oIdx=0 buffer=0 iui=0
	;; [unrolled: 1-line block ×7, first 2 shown]


/* local read prefetch b */

_ds_load_b64 v[vgprValuB_X0_I0+0:vgprValuB_X0_I0+0+1], v[vgprLocalReadAddrB] offset:0 // L -> Reg lro=0 swapByteOffset=0 ti=32 vIdx=0 rIdx=0 oIdx=0 buffer=0 iui=0
_ds_load_b64 v[vgprValuB_X0_I0+2:vgprValuB_X0_I0+2+1], v[vgprLocalReadAddrB] offset:4352 // L -> Reg lro=0 swapByteOffset=0 ti=32 vIdx=1 rIdx=0 oIdx=0 buffer=0 iui=0
	;; [unrolled: 1-line block ×8, first 2 shown]


/* local read inc a */

/* N/A, lro->16 */
/* self.localReadDoCntA 1 self.localReadDoCntB 1 */


/* local read inc b */

/* N/A, lro->16 */
/* self.localReadDoCntA 1 self.localReadDoCntB 1 */



/******************************************/
/* Unrolled Loop(s) - Begin               */
/******************************************/

openLoopL_13:
s_cmp_eq_u32 s[sgprLoopCounterL], 0x1              // LoopCounterL < EndCounter
s_cbranch_scc1 label_0014                          // PGR=2 but only 1 loop, toPGR1
s_cmp_le_u32 s[sgprLoopCounterL], 0x2              // LoopCounterL < EndCounter
s_cbranch_scc1 LoopEndL_evenexit_4                 // do not enter LoopL
LoopBeginL_1:


/******************************************/
/* Unrolled Loop 1/2 - Begin              */
/******************************************/

label_0015: // LoopCopy1 


/* Begin Each Unroll: Check VGPR.checkin for INT8 LW */


	;; [unrolled: 1-line block ×3, first 2 shown]
/* iter 0 */

/*  grEndMfmaIndex:18, lwStartMfmaIndex:52, lwEndMfmaIndex:198  */
/*  numMfmaForLR:20, barrierMfmaIndex:203, LocalWritePerMfma:0.405 */
/*  mfmaIndex:0  */
s_waitcnt lgkmcnt(0)                               // lgkmcnt=0 vmcnt=-1wait for prior local read local write old=0, new=0 newLW=0 newLR=0
v_mfma_f32_16x16x16_f16 a[0+0:3+0], v[vgprValuB_X0_I0+0+0+0:vgprValuB_X0_I0+0+0+0+1], v[vgprValuA_X0_I0+0+0+0:vgprValuA_X0_I0+0+0+0+1], a[0:3]
/*  mfmaIndex:1  */
_ds_load_b64 v[vgprValuA_X1_I0+0:vgprValuA_X1_I0+0+1], v[vgprLocalReadAddrA] offset:32 // L -> Reg lro=16 swapByteOffset=0 ti=32 vIdx=0 rIdx=0 oIdx=0 buffer=1 iui=0

/* global read inc A loopL */
s_cmp_eq_u32 s[sgprLoopCounterL], s[sgprStaggerUIter] // Is this the wrapIter?
v_mfma_f32_16x16x16_f16 a[4+0:7+0], v[vgprValuB_X0_I0+0+0+0:vgprValuB_X0_I0+0+0+0+1], v[vgprValuA_X0_I0+2+0+0:vgprValuA_X0_I0+2+0+0+1], a[4:7]
/*  mfmaIndex:2  */
_ds_load_b64 v[vgprValuB_X1_I0+0:vgprValuB_X1_I0+0+1], v[vgprLocalReadAddrB] offset:32 // L -> Reg lro=16 swapByteOffset=0 ti=32 vIdx=0 rIdx=0 oIdx=0 buffer=1 iui=0
s_cselect_b32 s56, s[sgprWrapUA+0], s[sgprGlobalReadIncsA+0] // incLower <- ?
v_mfma_f32_16x16x16_f16 a[8+0:11+0], v[vgprValuB_X0_I0+0+0+0:vgprValuB_X0_I0+0+0+0+1], v[vgprValuA_X0_I0+4+0+0:vgprValuA_X0_I0+4+0+0+1], a[8:11]
/*  mfmaIndex:3  */
_ds_load_b64 v[vgprValuA_X1_I0+2:vgprValuA_X1_I0+2+1], v[vgprLocalReadAddrA] offset:4384 // L -> Reg lro=16 swapByteOffset=0 ti=32 vIdx=1 rIdx=0 oIdx=0 buffer=1 iui=0
s_cselect_b32 s57, s[sgprWrapUA+1], 0              // incUpper <- ?
v_mfma_f32_16x16x16_f16 a[12+0:15+0], v[vgprValuB_X0_I0+0+0+0:vgprValuB_X0_I0+0+0+0+1], v[vgprValuA_X0_I0+6+0+0:vgprValuA_X0_I0+6+0+0+1], a[12:15]
/*  mfmaIndex:4  */
_ds_load_b64 v[vgprValuA_X1_I0+4:vgprValuA_X1_I0+4+1], v[vgprLocalReadAddrA] offset:8736 // L -> Reg lro=16 swapByteOffset=0 ti=32 vIdx=2 rIdx=0 oIdx=0 buffer=1 iui=0
s_add_u32 s[sgprSrdA+0], s[sgprSrdA+0], s56        // gra SRD += inc(lower)
v_mfma_f32_16x16x16_f16 a[16+0:19+0], v[vgprValuB_X0_I0+0+0+0:vgprValuB_X0_I0+0+0+0+1], v[vgprValuA_X0_I0+8+0+0:vgprValuA_X0_I0+8+0+0+1], a[16:19]
/*  mfmaIndex:5  */
_ds_load_b64 v[vgprValuA_X1_I0+6:vgprValuA_X1_I0+6+1], v[vgprLocalReadAddrA] offset:13088 // L -> Reg lro=16 swapByteOffset=0 ti=32 vIdx=3 rIdx=0 oIdx=0 buffer=1 iui=0
s_addc_u32  s[sgprSrdA+1], s[sgprSrdA+1], s57      // gra SRD += inc(upper)
v_mfma_f32_16x16x16_f16 a[20+0:23+0], v[vgprValuB_X0_I0+0+0+0:vgprValuB_X0_I0+0+0+0+1], v[vgprValuA_X0_I0+10+0+0:vgprValuA_X0_I0+10+0+0+1], a[20:23]
/*  mfmaIndex:6  */
_ds_load_b64 v[vgprValuA_X1_I0+8:vgprValuA_X1_I0+8+1], v[vgprLocalReadAddrA] offset:17440 // L -> Reg lro=16 swapByteOffset=0 ti=32 vIdx=4 rIdx=0 oIdx=0 buffer=1 iui=0
s_sub_u32 s[sgprShadowLimitA+0], s[sgprShadowLimitA+0], s56 // limit -= inc)
v_mfma_f32_16x16x16_f16 a[24+0:27+0], v[vgprValuB_X0_I0+0+0+0:vgprValuB_X0_I0+0+0+0+1], v[vgprValuA_X0_I0+12+0+0:vgprValuA_X0_I0+12+0+0+1], a[24:27]
/*  mfmaIndex:7  */
_ds_load_b64 v[vgprValuA_X1_I0+10:vgprValuA_X1_I0+10+1], v[vgprLocalReadAddrA] offset:21792 // L -> Reg lro=16 swapByteOffset=0 ti=32 vIdx=5 rIdx=0 oIdx=0 buffer=1 iui=0
s_subb_u32 s[sgprShadowLimitA+1], s[sgprShadowLimitA+1], s57 // limit -= inc)
v_mfma_f32_16x16x16_f16 a[52+0:55+0], v[vgprValuB_X0_I0+2+0+0:vgprValuB_X0_I0+2+0+0+1], v[vgprValuA_X0_I0+12+0+0:vgprValuA_X0_I0+12+0+0+1], a[52:55]
/*  mfmaIndex:8  */
_ds_load_b64 v[vgprValuA_X1_I0+12:vgprValuA_X1_I0+12+1], v[vgprLocalReadAddrA] offset:26144 // L -> Reg lro=16 swapByteOffset=0 ti=32 vIdx=6 rIdx=0 oIdx=0 buffer=1 iui=0
s_cmp_eq_u32 s[sgprShadowLimitA+1], 0              // are we within 2^32?
v_mfma_f32_16x16x16_f16 a[48+0:51+0], v[vgprValuB_X0_I0+2+0+0:vgprValuB_X0_I0+2+0+0+1], v[vgprValuA_X0_I0+10+0+0:vgprValuA_X0_I0+10+0+0+1], a[48:51]
/*  mfmaIndex:9  */
_ds_load_b64 v[vgprValuB_X1_I0+2:vgprValuB_X1_I0+2+1], v[vgprLocalReadAddrB] offset:4384 // L -> Reg lro=16 swapByteOffset=0 ti=32 vIdx=1 rIdx=0 oIdx=0 buffer=1 iui=0
s_cselect_b32 s[sgprSrdA+2], s[sgprShadowLimitA+0], BufferLimitA // Move shadow to real if we are within 2^32
v_mfma_f32_16x16x16_f16 a[44+0:47+0], v[vgprValuB_X0_I0+2+0+0:vgprValuB_X0_I0+2+0+0+1], v[vgprValuA_X0_I0+8+0+0:vgprValuA_X0_I0+8+0+0+1], a[44:47]
/*  mfmaIndex:10  */
_ds_load_b64 v[vgprValuB_X1_I0+4:vgprValuB_X1_I0+4+1], v[vgprLocalReadAddrB] offset:8736 // L -> Reg lro=16 swapByteOffset=0 ti=32 vIdx=2 rIdx=0 oIdx=0 buffer=1 iui=0

/* global read inc B loopL */
s_cmp_eq_u32 s[sgprLoopCounterL], s[sgprStaggerUIter] // Is this the wrapIter?
v_mfma_f32_16x16x16_f16 a[40+0:43+0], v[vgprValuB_X0_I0+2+0+0:vgprValuB_X0_I0+2+0+0+1], v[vgprValuA_X0_I0+6+0+0:vgprValuA_X0_I0+6+0+0+1], a[40:43]
/*  mfmaIndex:11  */
_ds_load_b64 v[vgprValuB_X1_I0+6:vgprValuB_X1_I0+6+1], v[vgprLocalReadAddrB] offset:13088 // L -> Reg lro=16 swapByteOffset=0 ti=32 vIdx=3 rIdx=0 oIdx=0 buffer=1 iui=0
s_cselect_b32 s56, s[sgprWrapUB+0], s[sgprGlobalReadIncsB+0] // incLower <- ?
v_mfma_f32_16x16x16_f16 a[36+0:39+0], v[vgprValuB_X0_I0+2+0+0:vgprValuB_X0_I0+2+0+0+1], v[vgprValuA_X0_I0+4+0+0:vgprValuA_X0_I0+4+0+0+1], a[36:39]
/*  mfmaIndex:12  */
_ds_load_b64 v[vgprValuB_X1_I0+8:vgprValuB_X1_I0+8+1], v[vgprLocalReadAddrB] offset:17440 // L -> Reg lro=16 swapByteOffset=0 ti=32 vIdx=4 rIdx=0 oIdx=0 buffer=1 iui=0
s_cselect_b32 s57, s[sgprWrapUB+1], 0              // incUpper <- ?
v_mfma_f32_16x16x16_f16 a[32+0:35+0], v[vgprValuB_X0_I0+2+0+0:vgprValuB_X0_I0+2+0+0+1], v[vgprValuA_X0_I0+2+0+0:vgprValuA_X0_I0+2+0+0+1], a[32:35]
/*  mfmaIndex:13  */
_ds_load_b64 v[vgprValuB_X1_I0+10:vgprValuB_X1_I0+10+1], v[vgprLocalReadAddrB] offset:21792 // L -> Reg lro=16 swapByteOffset=0 ti=32 vIdx=5 rIdx=0 oIdx=0 buffer=1 iui=0
s_add_u32 s[sgprSrdB+0], s[sgprSrdB+0], s56        // gra SRD += inc(lower)
v_mfma_f32_16x16x16_f16 a[28+0:31+0], v[vgprValuB_X0_I0+2+0+0:vgprValuB_X0_I0+2+0+0+1], v[vgprValuA_X0_I0+0+0+0:vgprValuA_X0_I0+0+0+0+1], a[28:31]
/*  mfmaIndex:14  */
_ds_load_b64 v[vgprValuB_X1_I0+12:vgprValuB_X1_I0+12+1], v[vgprLocalReadAddrB] offset:26144 // L -> Reg lro=16 swapByteOffset=0 ti=32 vIdx=6 rIdx=0 oIdx=0 buffer=1 iui=0
s_addc_u32  s[sgprSrdB+1], s[sgprSrdB+1], s57      // gra SRD += inc(upper)
v_mfma_f32_16x16x16_f16 a[56+0:59+0], v[vgprValuB_X0_I0+4+0+0:vgprValuB_X0_I0+4+0+0+1], v[vgprValuA_X0_I0+0+0+0:vgprValuA_X0_I0+0+0+0+1], a[56:59]
/*  mfmaIndex:15  */
_ds_load_b64 v[vgprValuB_X1_I0+14:vgprValuB_X1_I0+14+1], v[vgprLocalReadAddrB] offset:30496 // L -> Reg lro=16 swapByteOffset=0 ti=32 vIdx=7 rIdx=0 oIdx=0 buffer=1 iui=0
s_sub_u32 s[sgprShadowLimitB+0], s[sgprShadowLimitB+0], s56 // limit -= inc)
v_mfma_f32_16x16x16_f16 a[60+0:63+0], v[vgprValuB_X0_I0+4+0+0:vgprValuB_X0_I0+4+0+0+1], v[vgprValuA_X0_I0+2+0+0:vgprValuA_X0_I0+2+0+0+1], a[60:63]
/*  mfmaIndex:16  */
/* localReadsVacancy: latencyLeft 2 */
_ds_load_b64 v[vgprValuA_X2_I0+0:vgprValuA_X2_I0+0+1], v[vgprLocalReadAddrA] offset:64 // L -> Reg lro=32 swapByteOffset=0 ti=32 vIdx=0 rIdx=0 oIdx=0 buffer=2 iui=0
s_subb_u32 s[sgprShadowLimitB+1], s[sgprShadowLimitB+1], s57 // limit -= inc)
v_mfma_f32_16x16x16_f16 a[64+0:67+0], v[vgprValuB_X0_I0+4+0+0:vgprValuB_X0_I0+4+0+0+1], v[vgprValuA_X0_I0+4+0+0:vgprValuA_X0_I0+4+0+0+1], a[64:67]
/*  mfmaIndex:17  */
/* localReadsVacancy: latencyLeft 2 */
_ds_load_b64 v[vgprValuB_X2_I0+0:vgprValuB_X2_I0+0+1], v[vgprLocalReadAddrB] offset:64 // L -> Reg lro=32 swapByteOffset=0 ti=32 vIdx=0 rIdx=0 oIdx=0 buffer=2 iui=0
s_cmp_eq_u32 s[sgprShadowLimitB+1], 0              // are we within 2^32?
v_mfma_f32_16x16x16_f16 a[68+0:71+0], v[vgprValuB_X0_I0+4+0+0:vgprValuB_X0_I0+4+0+0+1], v[vgprValuA_X0_I0+6+0+0:vgprValuA_X0_I0+6+0+0+1], a[68:71]
/*  mfmaIndex:18  */
/* localReadsVacancy: latencyLeft 2 */
_ds_load_b64 v[vgprValuA_X2_I0+2:vgprValuA_X2_I0+2+1], v[vgprLocalReadAddrA] offset:4416 // L -> Reg lro=32 swapByteOffset=0 ti=32 vIdx=1 rIdx=0 oIdx=0 buffer=2 iui=0
s_cselect_b32 s[sgprSrdB+2], s[sgprShadowLimitB+0], BufferLimitB // Move shadow to real if we are within 2^32
v_mfma_f32_16x16x16_f16 a[72+0:75+0], v[vgprValuB_X0_I0+4+0+0:vgprValuB_X0_I0+4+0+0+1], v[vgprValuA_X0_I0+8+0+0:vgprValuA_X0_I0+8+0+0+1], a[72:75]
/*  mfmaIndex:19  */
/* localReadsVacancy: latencyLeft 2 */
_ds_load_b64 v[vgprValuA_X2_I0+4:vgprValuA_X2_I0+4+1], v[vgprLocalReadAddrA] offset:8768 // L -> Reg lro=32 swapByteOffset=0 ti=32 vIdx=2 rIdx=0 oIdx=0 buffer=2 iui=0
v_mfma_f32_16x16x16_f16 a[76+0:79+0], v[vgprValuB_X0_I0+4+0+0:vgprValuB_X0_I0+4+0+0+1], v[vgprValuA_X0_I0+10+0+0:vgprValuA_X0_I0+10+0+0+1], a[76:79]
/*  mfmaIndex:20  */
/* localReadsVacancy: latencyLeft 2 */
_ds_load_b64 v[vgprValuA_X2_I0+6:vgprValuA_X2_I0+6+1], v[vgprLocalReadAddrA] offset:13120 // L -> Reg lro=32 swapByteOffset=0 ti=32 vIdx=3 rIdx=0 oIdx=0 buffer=2 iui=0
	;; [unrolled: 4-line block ×5, first 2 shown]
v_mfma_f32_16x16x16_f16 a[100+0:103+0], v[vgprValuB_X0_I0+6+0+0:vgprValuB_X0_I0+6+0+0+1], v[vgprValuA_X0_I0+8+0+0:vgprValuA_X0_I0+8+0+0+1], a[100:103]
/*  mfmaIndex:24  */
/* localReadsVacancy: latencyLeft 2 */
_ds_load_b64 v[vgprValuB_X2_I0+2:vgprValuB_X2_I0+2+1], v[vgprLocalReadAddrB] offset:4416 // L -> Reg lro=32 swapByteOffset=0 ti=32 vIdx=1 rIdx=0 oIdx=0 buffer=2 iui=0
v_mfma_f32_16x16x16_f16 a[96+0:99+0], v[vgprValuB_X0_I0+6+0+0:vgprValuB_X0_I0+6+0+0+1], v[vgprValuA_X0_I0+6+0+0:vgprValuA_X0_I0+6+0+0+1], a[96:99]
/*  mfmaIndex:25  */
/* localReadsVacancy: latencyLeft 2 */
_ds_load_b64 v[vgprValuB_X2_I0+4:vgprValuB_X2_I0+4+1], v[vgprLocalReadAddrB] offset:8768 // L -> Reg lro=32 swapByteOffset=0 ti=32 vIdx=2 rIdx=0 oIdx=0 buffer=2 iui=0
v_mfma_f32_16x16x16_f16 a[92+0:95+0], v[vgprValuB_X0_I0+6+0+0:vgprValuB_X0_I0+6+0+0+1], v[vgprValuA_X0_I0+4+0+0:vgprValuA_X0_I0+4+0+0+1], a[92:95]
/*  mfmaIndex:26  */
/* localReadsVacancy: latencyLeft 2 */
_ds_load_b64 v[vgprValuB_X2_I0+6:vgprValuB_X2_I0+6+1], v[vgprLocalReadAddrB] offset:13120 // L -> Reg lro=32 swapByteOffset=0 ti=32 vIdx=3 rIdx=0 oIdx=0 buffer=2 iui=0
v_mfma_f32_16x16x16_f16 a[88+0:91+0], v[vgprValuB_X0_I0+6+0+0:vgprValuB_X0_I0+6+0+0+1], v[vgprValuA_X0_I0+2+0+0:vgprValuA_X0_I0+2+0+0+1], a[88:91]
/*  mfmaIndex:27  */
/* localReadsVacancy: latencyLeft 2 */
_ds_load_b64 v[vgprValuB_X2_I0+8:vgprValuB_X2_I0+8+1], v[vgprLocalReadAddrB] offset:17472 // L -> Reg lro=32 swapByteOffset=0 ti=32 vIdx=4 rIdx=0 oIdx=0 buffer=2 iui=0
v_mfma_f32_16x16x16_f16 a[84+0:87+0], v[vgprValuB_X0_I0+6+0+0:vgprValuB_X0_I0+6+0+0+1], v[vgprValuA_X0_I0+0+0+0:vgprValuA_X0_I0+0+0+0+1], a[84:87]
/*  mfmaIndex:28  */
/* localReadsVacancy: latencyLeft 2 */
_ds_load_b64 v[vgprValuB_X2_I0+10:vgprValuB_X2_I0+10+1], v[vgprLocalReadAddrB] offset:21824 // L -> Reg lro=32 swapByteOffset=0 ti=32 vIdx=5 rIdx=0 oIdx=0 buffer=2 iui=0
v_mfma_f32_16x16x16_f16 a[112+0:115+0], v[vgprValuB_X0_I0+8+0+0:vgprValuB_X0_I0+8+0+0+1], v[vgprValuA_X0_I0+0+0+0:vgprValuA_X0_I0+0+0+0+1], a[112:115]
/*  mfmaIndex:29  */
/* localReadsVacancy: latencyLeft 2 */
_ds_load_b64 v[vgprValuB_X2_I0+12:vgprValuB_X2_I0+12+1], v[vgprLocalReadAddrB] offset:26176 // L -> Reg lro=32 swapByteOffset=0 ti=32 vIdx=6 rIdx=0 oIdx=0 buffer=2 iui=0
v_mfma_f32_16x16x16_f16 a[116+0:119+0], v[vgprValuB_X0_I0+8+0+0:vgprValuB_X0_I0+8+0+0+1], v[vgprValuA_X0_I0+2+0+0:vgprValuA_X0_I0+2+0+0+1], a[116:119]
/*  mfmaIndex:30  */
/* localReadsVacancy: latencyLeft 2 */
_ds_load_b64 v[vgprValuB_X2_I0+14:vgprValuB_X2_I0+14+1], v[vgprLocalReadAddrB] offset:30528 // L -> Reg lro=32 swapByteOffset=0 ti=32 vIdx=7 rIdx=0 oIdx=0 buffer=2 iui=0
v_mfma_f32_16x16x16_f16 a[120+0:123+0], v[vgprValuB_X0_I0+8+0+0:vgprValuB_X0_I0+8+0+0+1], v[vgprValuA_X0_I0+4+0+0:vgprValuA_X0_I0+4+0+0+1], a[120:123]
/*  mfmaIndex:31  */
/* localReadsVacancy: latencyLeft 2 */
_ds_load_b64 v[vgprValuA_X3_I0+0:vgprValuA_X3_I0+0+1], v[vgprLocalReadAddrA] offset:96 // L -> Reg lro=48 swapByteOffset=0 ti=32 vIdx=0 rIdx=0 oIdx=0 buffer=3 iui=0
v_mfma_f32_16x16x16_f16 a[124+0:127+0], v[vgprValuB_X0_I0+8+0+0:vgprValuB_X0_I0+8+0+0+1], v[vgprValuA_X0_I0+6+0+0:vgprValuA_X0_I0+6+0+0+1], a[124:127]
/*  mfmaIndex:32  */
/* localReadsVacancy: latencyLeft 2 */
_ds_load_b64 v[vgprValuB_X3_I0+0:vgprValuB_X3_I0+0+1], v[vgprLocalReadAddrB] offset:96 // L -> Reg lro=48 swapByteOffset=0 ti=32 vIdx=0 rIdx=0 oIdx=0 buffer=3 iui=0
v_mfma_f32_16x16x16_f16 a[128+0:131+0], v[vgprValuB_X0_I0+8+0+0:vgprValuB_X0_I0+8+0+0+1], v[vgprValuA_X0_I0+8+0+0:vgprValuA_X0_I0+8+0+0+1], a[128:131]
/*  mfmaIndex:33  */
/* localReadsVacancy: latencyLeft 2 */
_ds_load_b64 v[vgprValuA_X3_I0+2:vgprValuA_X3_I0+2+1], v[vgprLocalReadAddrA] offset:4448 // L -> Reg lro=48 swapByteOffset=0 ti=32 vIdx=1 rIdx=0 oIdx=0 buffer=3 iui=0
v_mfma_f32_16x16x16_f16 a[132+0:135+0], v[vgprValuB_X0_I0+8+0+0:vgprValuB_X0_I0+8+0+0+1], v[vgprValuA_X0_I0+10+0+0:vgprValuA_X0_I0+10+0+0+1], a[132:135]
/*  mfmaIndex:34  */
/* localReadsVacancy: latencyLeft 2 */
_ds_load_b64 v[vgprValuA_X3_I0+4:vgprValuA_X3_I0+4+1], v[vgprLocalReadAddrA] offset:8800 // L -> Reg lro=48 swapByteOffset=0 ti=32 vIdx=2 rIdx=0 oIdx=0 buffer=3 iui=0
v_mfma_f32_16x16x16_f16 a[136+0:139+0], v[vgprValuB_X0_I0+8+0+0:vgprValuB_X0_I0+8+0+0+1], v[vgprValuA_X0_I0+12+0+0:vgprValuA_X0_I0+12+0+0+1], a[136:139]
/*  mfmaIndex:35  */
/* localReadsVacancy: latencyLeft 2 */
_ds_load_b64 v[vgprValuA_X3_I0+6:vgprValuA_X3_I0+6+1], v[vgprLocalReadAddrA] offset:13152 // L -> Reg lro=48 swapByteOffset=0 ti=32 vIdx=3 rIdx=0 oIdx=0 buffer=3 iui=0
v_mfma_f32_16x16x16_f16 a[164+0:167+0], v[vgprValuB_X0_I0+10+0+0:vgprValuB_X0_I0+10+0+0+1], v[vgprValuA_X0_I0+12+0+0:vgprValuA_X0_I0+12+0+0+1], a[164:167]
/*  mfmaIndex:36  */
/* localReadsVacancy: latencyLeft 2 */
_ds_load_b64 v[vgprValuA_X3_I0+8:vgprValuA_X3_I0+8+1], v[vgprLocalReadAddrA] offset:17504 // L -> Reg lro=48 swapByteOffset=0 ti=32 vIdx=4 rIdx=0 oIdx=0 buffer=3 iui=0
v_mfma_f32_16x16x16_f16 a[160+0:163+0], v[vgprValuB_X0_I0+10+0+0:vgprValuB_X0_I0+10+0+0+1], v[vgprValuA_X0_I0+10+0+0:vgprValuA_X0_I0+10+0+0+1], a[160:163]
/*  mfmaIndex:37  */
/* localReadsVacancy: latencyLeft 2 */
_ds_load_b64 v[vgprValuA_X3_I0+10:vgprValuA_X3_I0+10+1], v[vgprLocalReadAddrA] offset:21856 // L -> Reg lro=48 swapByteOffset=0 ti=32 vIdx=5 rIdx=0 oIdx=0 buffer=3 iui=0
v_mfma_f32_16x16x16_f16 a[156+0:159+0], v[vgprValuB_X0_I0+10+0+0:vgprValuB_X0_I0+10+0+0+1], v[vgprValuA_X0_I0+8+0+0:vgprValuA_X0_I0+8+0+0+1], a[156:159]
/*  mfmaIndex:38  */
/* localReadsVacancy: latencyLeft 2 */
_ds_load_b64 v[vgprValuA_X3_I0+12:vgprValuA_X3_I0+12+1], v[vgprLocalReadAddrA] offset:26208 // L -> Reg lro=48 swapByteOffset=0 ti=32 vIdx=6 rIdx=0 oIdx=0 buffer=3 iui=0
v_mfma_f32_16x16x16_f16 a[152+0:155+0], v[vgprValuB_X0_I0+10+0+0:vgprValuB_X0_I0+10+0+0+1], v[vgprValuA_X0_I0+6+0+0:vgprValuA_X0_I0+6+0+0+1], a[152:155]
/*  mfmaIndex:39  */
/* localReadsVacancy: latencyLeft 2 */
_ds_load_b64 v[vgprValuB_X3_I0+2:vgprValuB_X3_I0+2+1], v[vgprLocalReadAddrB] offset:4448 // L -> Reg lro=48 swapByteOffset=0 ti=32 vIdx=1 rIdx=0 oIdx=0 buffer=3 iui=0
v_mfma_f32_16x16x16_f16 a[148+0:151+0], v[vgprValuB_X0_I0+10+0+0:vgprValuB_X0_I0+10+0+0+1], v[vgprValuA_X0_I0+4+0+0:vgprValuA_X0_I0+4+0+0+1], a[148:151]
/*  mfmaIndex:40  */
/* localReadsVacancy: latencyLeft 2 */
_ds_load_b64 v[vgprValuB_X3_I0+4:vgprValuB_X3_I0+4+1], v[vgprLocalReadAddrB] offset:8800 // L -> Reg lro=48 swapByteOffset=0 ti=32 vIdx=2 rIdx=0 oIdx=0 buffer=3 iui=0
	;; [unrolled: 4-line block ×7, first 2 shown]
v_mfma_f32_16x16x16_f16 a[180+0:183+0], v[vgprValuB_X0_I0+12+0+0:vgprValuB_X0_I0+12+0+0+1], v[vgprValuA_X0_I0+6+0+0:vgprValuA_X0_I0+6+0+0+1], a[180:183]
/*  mfmaIndex:46  */
/* localReadsVacancy: latencyLeft 2 */
v_mfma_f32_16x16x16_f16 a[184+0:187+0], v[vgprValuB_X0_I0+12+0+0:vgprValuB_X0_I0+12+0+0+1], v[vgprValuA_X0_I0+8+0+0:vgprValuA_X0_I0+8+0+0+1], a[184:187]
/*  mfmaIndex:47  */
/* localReadsVacancy: latencyLeft 2 */
	;; [unrolled: 3-line block ×6, first 2 shown]
/* 1 LDS buffer: read-sync-write */
s_waitcnt lgkmcnt(0)                               // 
s_barrier                                          // 
v_mfma_f32_16x16x16_f16 a[212+0:215+0], v[vgprValuB_X0_I0+14+0+0:vgprValuB_X0_I0+14+0+0+1], v[vgprValuA_X0_I0+8+0+0:vgprValuA_X0_I0+8+0+0+1], a[212:215]
/*  mfmaIndex:52  */
s_setprio 3                                        // store optimization
/* sched write - iter 0 writesPerItem=1 */
s_waitcnt vmcnt(0)                                 // lgkmcnt=-1 vmcnt=0wait for global read before writing to local
_ds_store_b32 v[vgprLocalWriteAddrA], v[vgprG2LA+0] offset:0 // lwoA_0_0_0_0 = (0*LSCA)*(MT0I+PAD) + (0*LSPA) = 0
v_mfma_f32_16x16x16_f16 a[208+0:211+0], v[vgprValuB_X0_I0+14+0+0:vgprValuB_X0_I0+14+0+0+1], v[vgprValuA_X0_I0+6+0+0:vgprValuA_X0_I0+6+0+0+1], a[208:211]
/*  mfmaIndex:53  */
_buffer_load_b32 v[vgprG2LA+0], v[vgprGlobalReadOffsetA+0], s[sgprSrdA:sgprSrdA+3], 0, offen offset:0 // G -> Reg 0_0_0_0
v_mfma_f32_16x16x16_f16 a[204+0:207+0], v[vgprValuB_X0_I0+14+0+0:vgprValuB_X0_I0+14+0+0+1], v[vgprValuA_X0_I0+4+0+0:vgprValuA_X0_I0+4+0+0+1], a[204:207]
/*  mfmaIndex:54  */
/* sched write - iter 0 writesPerItem=1 */
s_waitcnt vmcnt(0)                                 // lgkmcnt=-1 vmcnt=0wait for global read before writing to local
_ds_store_b32 v[vgprLocalWriteAddrA], v[vgprG2LA+1] offset:1088 // lwoA_0_0_1_0 = (0*LSCA)*(MT0I+PAD) + (1*LSPA) = 1088
v_mfma_f32_16x16x16_f16 a[200+0:203+0], v[vgprValuB_X0_I0+14+0+0:vgprValuB_X0_I0+14+0+0+1], v[vgprValuA_X0_I0+2+0+0:vgprValuA_X0_I0+2+0+0+1], a[200:203]
/*  mfmaIndex:55  */
_buffer_load_b32 v[vgprG2LA+1], v[vgprGlobalReadOffsetA+1], s[sgprSrdA:sgprSrdA+3], 0, offen offset:0 // G -> Reg 0_0_1_0
v_mfma_f32_16x16x16_f16 a[196+0:199+0], v[vgprValuB_X0_I0+14+0+0:vgprValuB_X0_I0+14+0+0+1], v[vgprValuA_X0_I0+0+0+0:vgprValuA_X0_I0+0+0+0+1], a[196:199]
/* numPrefetchIter=0 */
/* dataAtIterA=-1 numReadsIterA=1 skipReadsIterA=1 readsPerIterA=7 */
/* dataAtIterB=-1 numReadsIterB=1 skipReadsIterB=1 readsPerIterB=8 */


/* iter 1 */

/*  grEndMfmaIndex:18, lwStartMfmaIndex:52, lwEndMfmaIndex:198  */
/*  numMfmaForLR:20, barrierMfmaIndex:203, LocalWritePerMfma:0.405 */
/*  mfmaIndex:56  */
/* sched write - iter 1 writesPerItem=1 */
s_waitcnt vmcnt(0)                                 // lgkmcnt=-1 vmcnt=0wait for global read before writing to local
_ds_store_b32 v[vgprLocalWriteAddrA], v[vgprG2LA+2] offset:2176 // lwoA_0_0_2_0 = (0*LSCA)*(MT0I+PAD) + (2*LSPA) = 2176
v_mfma_f32_16x16x16_f16 a[0+0:3+0], v[vgprValuB_X1_I0+0+0+0:vgprValuB_X1_I0+0+0+0+1], v[vgprValuA_X1_I0+0+0+0:vgprValuA_X1_I0+0+0+0+1], a[0:3]
/*  mfmaIndex:57  */
_buffer_load_b32 v[vgprG2LA+2], v[vgprGlobalReadOffsetA+2], s[sgprSrdA:sgprSrdA+3], 0, offen offset:0 // G -> Reg 0_0_2_0
v_mfma_f32_16x16x16_f16 a[4+0:7+0], v[vgprValuB_X1_I0+0+0+0:vgprValuB_X1_I0+0+0+0+1], v[vgprValuA_X1_I0+2+0+0:vgprValuA_X1_I0+2+0+0+1], a[4:7]
/*  mfmaIndex:58  */
v_mfma_f32_16x16x16_f16 a[8+0:11+0], v[vgprValuB_X1_I0+0+0+0:vgprValuB_X1_I0+0+0+0+1], v[vgprValuA_X1_I0+4+0+0:vgprValuA_X1_I0+4+0+0+1], a[8:11]
/*  mfmaIndex:59  */
/* sched write - iter 1 writesPerItem=1 */
s_waitcnt vmcnt(0)                                 // lgkmcnt=-1 vmcnt=0wait for global read before writing to local
_ds_store_b32 v[vgprLocalWriteAddrA], v[vgprG2LA+3] offset:3264 // lwoA_0_0_3_0 = (0*LSCA)*(MT0I+PAD) + (3*LSPA) = 3264
v_mfma_f32_16x16x16_f16 a[12+0:15+0], v[vgprValuB_X1_I0+0+0+0:vgprValuB_X1_I0+0+0+0+1], v[vgprValuA_X1_I0+6+0+0:vgprValuA_X1_I0+6+0+0+1], a[12:15]
/*  mfmaIndex:60  */
_buffer_load_b32 v[vgprG2LA+3], v[vgprGlobalReadOffsetA+3], s[sgprSrdA:sgprSrdA+3], 0, offen offset:0 // G -> Reg 0_0_3_0
v_mfma_f32_16x16x16_f16 a[16+0:19+0], v[vgprValuB_X1_I0+0+0+0:vgprValuB_X1_I0+0+0+0+1], v[vgprValuA_X1_I0+8+0+0:vgprValuA_X1_I0+8+0+0+1], a[16:19]
/*  mfmaIndex:61  */
/* sched write - iter 1 writesPerItem=1 */
s_waitcnt vmcnt(0)                                 // lgkmcnt=-1 vmcnt=0wait for global read before writing to local
_ds_store_b32 v[vgprLocalWriteAddrA], v[vgprG2LA+4] offset:4352 // lwoA_0_0_4_0 = (0*LSCA)*(MT0I+PAD) + (4*LSPA) = 4352
v_mfma_f32_16x16x16_f16 a[20+0:23+0], v[vgprValuB_X1_I0+0+0+0:vgprValuB_X1_I0+0+0+0+1], v[vgprValuA_X1_I0+10+0+0:vgprValuA_X1_I0+10+0+0+1], a[20:23]
/*  mfmaIndex:62  */
_buffer_load_b32 v[vgprG2LA+4], v[vgprGlobalReadOffsetA+4], s[sgprSrdA:sgprSrdA+3], 0, offen offset:0 // G -> Reg 0_0_4_0
v_mfma_f32_16x16x16_f16 a[24+0:27+0], v[vgprValuB_X1_I0+0+0+0:vgprValuB_X1_I0+0+0+0+1], v[vgprValuA_X1_I0+12+0+0:vgprValuA_X1_I0+12+0+0+1], a[24:27]
/*  mfmaIndex:63  */
v_mfma_f32_16x16x16_f16 a[52+0:55+0], v[vgprValuB_X1_I0+2+0+0:vgprValuB_X1_I0+2+0+0+1], v[vgprValuA_X1_I0+12+0+0:vgprValuA_X1_I0+12+0+0+1], a[52:55]
/*  mfmaIndex:64  */
/* sched write - iter 1 writesPerItem=1 */
s_waitcnt vmcnt(0)                                 // lgkmcnt=-1 vmcnt=0wait for global read before writing to local
_ds_store_b32 v[vgprLocalWriteAddrA], v[vgprG2LA+5] offset:5440 // lwoA_0_0_5_0 = (0*LSCA)*(MT0I+PAD) + (5*LSPA) = 5440
v_mfma_f32_16x16x16_f16 a[48+0:51+0], v[vgprValuB_X1_I0+2+0+0:vgprValuB_X1_I0+2+0+0+1], v[vgprValuA_X1_I0+10+0+0:vgprValuA_X1_I0+10+0+0+1], a[48:51]
/*  mfmaIndex:65  */
_buffer_load_b32 v[vgprG2LA+5], v[vgprGlobalReadOffsetA+5], s[sgprSrdA:sgprSrdA+3], 0, offen offset:0 // G -> Reg 0_0_5_0
v_mfma_f32_16x16x16_f16 a[44+0:47+0], v[vgprValuB_X1_I0+2+0+0:vgprValuB_X1_I0+2+0+0+1], v[vgprValuA_X1_I0+8+0+0:vgprValuA_X1_I0+8+0+0+1], a[44:47]
/*  mfmaIndex:66  */
/* sched write - iter 1 writesPerItem=1 */
s_waitcnt vmcnt(0)                                 // lgkmcnt=-1 vmcnt=0wait for global read before writing to local
_ds_store_b32 v[vgprLocalWriteAddrA], v[vgprG2LA+6] offset:6528 // lwoA_0_0_6_0 = (0*LSCA)*(MT0I+PAD) + (6*LSPA) = 6528
v_mfma_f32_16x16x16_f16 a[40+0:43+0], v[vgprValuB_X1_I0+2+0+0:vgprValuB_X1_I0+2+0+0+1], v[vgprValuA_X1_I0+6+0+0:vgprValuA_X1_I0+6+0+0+1], a[40:43]
/*  mfmaIndex:67  */
_buffer_load_b32 v[vgprG2LA+6], v[vgprGlobalReadOffsetA+6], s[sgprSrdA:sgprSrdA+3], 0, offen offset:0 // G -> Reg 0_0_6_0
v_mfma_f32_16x16x16_f16 a[36+0:39+0], v[vgprValuB_X1_I0+2+0+0:vgprValuB_X1_I0+2+0+0+1], v[vgprValuA_X1_I0+4+0+0:vgprValuA_X1_I0+4+0+0+1], a[36:39]
/*  mfmaIndex:68  */
v_mfma_f32_16x16x16_f16 a[32+0:35+0], v[vgprValuB_X1_I0+2+0+0:vgprValuB_X1_I0+2+0+0+1], v[vgprValuA_X1_I0+2+0+0:vgprValuA_X1_I0+2+0+0+1], a[32:35]
/*  mfmaIndex:69  */
/* sched write - iter 1 writesPerItem=1 */
s_waitcnt vmcnt(0)                                 // lgkmcnt=-1 vmcnt=0wait for global read before writing to local
_ds_store_b32 v[vgprLocalWriteAddrA], v[vgprG2LA+7] offset:7616 // lwoA_0_0_7_0 = (0*LSCA)*(MT0I+PAD) + (7*LSPA) = 7616
v_mfma_f32_16x16x16_f16 a[28+0:31+0], v[vgprValuB_X1_I0+2+0+0:vgprValuB_X1_I0+2+0+0+1], v[vgprValuA_X1_I0+0+0+0:vgprValuA_X1_I0+0+0+0+1], a[28:31]
/*  mfmaIndex:70  */
_buffer_load_b32 v[vgprG2LA+7], v[vgprGlobalReadOffsetA+7], s[sgprSrdA:sgprSrdA+3], 0, offen offset:0 // G -> Reg 0_0_7_0
v_mfma_f32_16x16x16_f16 a[56+0:59+0], v[vgprValuB_X1_I0+4+0+0:vgprValuB_X1_I0+4+0+0+1], v[vgprValuA_X1_I0+0+0+0:vgprValuA_X1_I0+0+0+0+1], a[56:59]
/*  mfmaIndex:71  */
/* sched write - iter 1 writesPerItem=1 */
s_waitcnt vmcnt(0)                                 // lgkmcnt=-1 vmcnt=0wait for global read before writing to local
_ds_store_b32 v[vgprLocalWriteAddrA], v[vgprG2LA+8] offset:8704 // lwoA_0_0_8_0 = (0*LSCA)*(MT0I+PAD) + (8*LSPA) = 8704
v_mfma_f32_16x16x16_f16 a[60+0:63+0], v[vgprValuB_X1_I0+4+0+0:vgprValuB_X1_I0+4+0+0+1], v[vgprValuA_X1_I0+2+0+0:vgprValuA_X1_I0+2+0+0+1], a[60:63]
/*  mfmaIndex:72  */
_buffer_load_b32 v[vgprG2LA+8], v[vgprGlobalReadOffsetA+8], s[sgprSrdA:sgprSrdA+3], 0, offen offset:0 // G -> Reg 0_0_8_0
v_mfma_f32_16x16x16_f16 a[64+0:67+0], v[vgprValuB_X1_I0+4+0+0:vgprValuB_X1_I0+4+0+0+1], v[vgprValuA_X1_I0+4+0+0:vgprValuA_X1_I0+4+0+0+1], a[64:67]
/*  mfmaIndex:73  */
v_mfma_f32_16x16x16_f16 a[68+0:71+0], v[vgprValuB_X1_I0+4+0+0:vgprValuB_X1_I0+4+0+0+1], v[vgprValuA_X1_I0+6+0+0:vgprValuA_X1_I0+6+0+0+1], a[68:71]
/*  mfmaIndex:74  */
/* sched write - iter 1 writesPerItem=1 */
s_waitcnt vmcnt(0)                                 // lgkmcnt=-1 vmcnt=0wait for global read before writing to local
_ds_store_b32 v[vgprLocalWriteAddrA], v[vgprG2LA+9] offset:9792 // lwoA_0_0_9_0 = (0*LSCA)*(MT0I+PAD) + (9*LSPA) = 9792
v_mfma_f32_16x16x16_f16 a[72+0:75+0], v[vgprValuB_X1_I0+4+0+0:vgprValuB_X1_I0+4+0+0+1], v[vgprValuA_X1_I0+8+0+0:vgprValuA_X1_I0+8+0+0+1], a[72:75]
/*  mfmaIndex:75  */
_buffer_load_b32 v[vgprG2LA+9], v[vgprGlobalReadOffsetA+9], s[sgprSrdA:sgprSrdA+3], 0, offen offset:0 // G -> Reg 0_0_9_0
v_mfma_f32_16x16x16_f16 a[76+0:79+0], v[vgprValuB_X1_I0+4+0+0:vgprValuB_X1_I0+4+0+0+1], v[vgprValuA_X1_I0+10+0+0:vgprValuA_X1_I0+10+0+0+1], a[76:79]
/*  mfmaIndex:76  */
/* sched write - iter 1 writesPerItem=1 */
s_waitcnt vmcnt(0)                                 // lgkmcnt=-1 vmcnt=0wait for global read before writing to local
_ds_store_b32 v[vgprLocalWriteAddrA], v[vgprG2LA+10] offset:10880 // lwoA_0_0_10_0 = (0*LSCA)*(MT0I+PAD) + (10*LSPA) = 10880
v_mfma_f32_16x16x16_f16 a[80+0:83+0], v[vgprValuB_X1_I0+4+0+0:vgprValuB_X1_I0+4+0+0+1], v[vgprValuA_X1_I0+12+0+0:vgprValuA_X1_I0+12+0+0+1], a[80:83]
/*  mfmaIndex:77  */
_buffer_load_b32 v[vgprG2LA+10], v[vgprGlobalReadOffsetA+10], s[sgprSrdA:sgprSrdA+3], 0, offen offset:0 // G -> Reg 0_0_10_0
v_mfma_f32_16x16x16_f16 a[108+0:111+0], v[vgprValuB_X1_I0+6+0+0:vgprValuB_X1_I0+6+0+0+1], v[vgprValuA_X1_I0+12+0+0:vgprValuA_X1_I0+12+0+0+1], a[108:111]
/*  mfmaIndex:78  */
v_mfma_f32_16x16x16_f16 a[104+0:107+0], v[vgprValuB_X1_I0+6+0+0:vgprValuB_X1_I0+6+0+0+1], v[vgprValuA_X1_I0+10+0+0:vgprValuA_X1_I0+10+0+0+1], a[104:107]
/*  mfmaIndex:79  */
/* sched write - iter 1 writesPerItem=1 */
s_waitcnt vmcnt(0)                                 // lgkmcnt=-1 vmcnt=0wait for global read before writing to local
_ds_store_b32 v[vgprLocalWriteAddrA], v[vgprG2LA+11] offset:11968 // lwoA_0_0_11_0 = (0*LSCA)*(MT0I+PAD) + (11*LSPA) = 11968
v_mfma_f32_16x16x16_f16 a[100+0:103+0], v[vgprValuB_X1_I0+6+0+0:vgprValuB_X1_I0+6+0+0+1], v[vgprValuA_X1_I0+8+0+0:vgprValuA_X1_I0+8+0+0+1], a[100:103]
/*  mfmaIndex:80  */
_buffer_load_b32 v[vgprG2LA+11], v[vgprGlobalReadOffsetA+11], s[sgprSrdA:sgprSrdA+3], 0, offen offset:0 // G -> Reg 0_0_11_0
v_mfma_f32_16x16x16_f16 a[96+0:99+0], v[vgprValuB_X1_I0+6+0+0:vgprValuB_X1_I0+6+0+0+1], v[vgprValuA_X1_I0+6+0+0:vgprValuA_X1_I0+6+0+0+1], a[96:99]
/*  mfmaIndex:81  */
/* sched write - iter 1 writesPerItem=1 */
s_waitcnt vmcnt(0)                                 // lgkmcnt=-1 vmcnt=0wait for global read before writing to local
_ds_store_b32 v[vgprLocalWriteAddrA], v[vgprG2LA+12] offset:13056 // lwoA_0_0_12_0 = (0*LSCA)*(MT0I+PAD) + (12*LSPA) = 13056
v_mfma_f32_16x16x16_f16 a[92+0:95+0], v[vgprValuB_X1_I0+6+0+0:vgprValuB_X1_I0+6+0+0+1], v[vgprValuA_X1_I0+4+0+0:vgprValuA_X1_I0+4+0+0+1], a[92:95]
/*  mfmaIndex:82  */
_buffer_load_b32 v[vgprG2LA+12], v[vgprGlobalReadOffsetA+12], s[sgprSrdA:sgprSrdA+3], 0, offen offset:0 // G -> Reg 0_0_12_0
v_mfma_f32_16x16x16_f16 a[88+0:91+0], v[vgprValuB_X1_I0+6+0+0:vgprValuB_X1_I0+6+0+0+1], v[vgprValuA_X1_I0+2+0+0:vgprValuA_X1_I0+2+0+0+1], a[88:91]
/*  mfmaIndex:83  */
v_mfma_f32_16x16x16_f16 a[84+0:87+0], v[vgprValuB_X1_I0+6+0+0:vgprValuB_X1_I0+6+0+0+1], v[vgprValuA_X1_I0+0+0+0:vgprValuA_X1_I0+0+0+0+1], a[84:87]
/*  mfmaIndex:84  */
/* sched write - iter 1 writesPerItem=1 */
s_waitcnt vmcnt(0)                                 // lgkmcnt=-1 vmcnt=0wait for global read before writing to local
_ds_store_b32 v[vgprLocalWriteAddrA], v[vgprG2LA+13] offset:14144 // lwoA_0_0_13_0 = (0*LSCA)*(MT0I+PAD) + (13*LSPA) = 14144
v_mfma_f32_16x16x16_f16 a[112+0:115+0], v[vgprValuB_X1_I0+8+0+0:vgprValuB_X1_I0+8+0+0+1], v[vgprValuA_X1_I0+0+0+0:vgprValuA_X1_I0+0+0+0+1], a[112:115]
/*  mfmaIndex:85  */
_buffer_load_b32 v[vgprG2LA+13], v[vgprGlobalReadOffsetA+13], s[sgprSrdA:sgprSrdA+3], 0, offen offset:0 // G -> Reg 0_0_13_0
v_mfma_f32_16x16x16_f16 a[116+0:119+0], v[vgprValuB_X1_I0+8+0+0:vgprValuB_X1_I0+8+0+0+1], v[vgprValuA_X1_I0+2+0+0:vgprValuA_X1_I0+2+0+0+1], a[116:119]
/*  mfmaIndex:86  */
/* sched write - iter 1 writesPerItem=1 */
s_waitcnt vmcnt(0)                                 // lgkmcnt=-1 vmcnt=0wait for global read before writing to local
_ds_store_b32 v[vgprLocalWriteAddrA], v[vgprG2LA+14] offset:15232 // lwoA_0_0_14_0 = (0*LSCA)*(MT0I+PAD) + (14*LSPA) = 15232
v_mfma_f32_16x16x16_f16 a[120+0:123+0], v[vgprValuB_X1_I0+8+0+0:vgprValuB_X1_I0+8+0+0+1], v[vgprValuA_X1_I0+4+0+0:vgprValuA_X1_I0+4+0+0+1], a[120:123]
/*  mfmaIndex:87  */
_buffer_load_b32 v[vgprG2LA+14], v[vgprGlobalReadOffsetA+14], s[sgprSrdA:sgprSrdA+3], 0, offen offset:0 // G -> Reg 0_0_14_0
v_mfma_f32_16x16x16_f16 a[124+0:127+0], v[vgprValuB_X1_I0+8+0+0:vgprValuB_X1_I0+8+0+0+1], v[vgprValuA_X1_I0+6+0+0:vgprValuA_X1_I0+6+0+0+1], a[124:127]
/*  mfmaIndex:88  */
v_mfma_f32_16x16x16_f16 a[128+0:131+0], v[vgprValuB_X1_I0+8+0+0:vgprValuB_X1_I0+8+0+0+1], v[vgprValuA_X1_I0+8+0+0:vgprValuA_X1_I0+8+0+0+1], a[128:131]
/*  mfmaIndex:89  */
/* sched write - iter 1 writesPerItem=1 */
s_waitcnt vmcnt(0)                                 // lgkmcnt=-1 vmcnt=0wait for global read before writing to local
_ds_store_b32 v[vgprLocalWriteAddrA], v[vgprG2LA+15] offset:16320 // lwoA_0_0_15_0 = (0*LSCA)*(MT0I+PAD) + (15*LSPA) = 16320
v_mfma_f32_16x16x16_f16 a[132+0:135+0], v[vgprValuB_X1_I0+8+0+0:vgprValuB_X1_I0+8+0+0+1], v[vgprValuA_X1_I0+10+0+0:vgprValuA_X1_I0+10+0+0+1], a[132:135]
/*  mfmaIndex:90  */
_buffer_load_b32 v[vgprG2LA+15], v[vgprGlobalReadOffsetA+15], s[sgprSrdA:sgprSrdA+3], 0, offen offset:0 // G -> Reg 0_0_15_0
v_mfma_f32_16x16x16_f16 a[136+0:139+0], v[vgprValuB_X1_I0+8+0+0:vgprValuB_X1_I0+8+0+0+1], v[vgprValuA_X1_I0+12+0+0:vgprValuA_X1_I0+12+0+0+1], a[136:139]
/*  mfmaIndex:91  */
/* sched write - iter 1 writesPerItem=1 */
s_waitcnt vmcnt(0)                                 // lgkmcnt=-1 vmcnt=0wait for global read before writing to local
_ds_store_b32 v[vgprLocalWriteAddrA], v[vgprG2LA+16] offset:17408 // lwoA_0_0_16_0 = (0*LSCA)*(MT0I+PAD) + (16*LSPA) = 17408
v_mfma_f32_16x16x16_f16 a[164+0:167+0], v[vgprValuB_X1_I0+10+0+0:vgprValuB_X1_I0+10+0+0+1], v[vgprValuA_X1_I0+12+0+0:vgprValuA_X1_I0+12+0+0+1], a[164:167]
/*  mfmaIndex:92  */
_buffer_load_b32 v[vgprG2LA+16], v[vgprGlobalReadOffsetA+16], s[sgprSrdA:sgprSrdA+3], 0, offen offset:0 // G -> Reg 0_0_16_0
v_mfma_f32_16x16x16_f16 a[160+0:163+0], v[vgprValuB_X1_I0+10+0+0:vgprValuB_X1_I0+10+0+0+1], v[vgprValuA_X1_I0+10+0+0:vgprValuA_X1_I0+10+0+0+1], a[160:163]
/*  mfmaIndex:93  */
/* sched write - iter 1 writesPerItem=1 */
s_waitcnt vmcnt(0)                                 // lgkmcnt=-1 vmcnt=0wait for global read before writing to local
_ds_store_b32 v[vgprLocalWriteAddrA], v[vgprG2LA+17] offset:18496 // lwoA_0_0_17_0 = (0*LSCA)*(MT0I+PAD) + (17*LSPA) = 18496
v_mfma_f32_16x16x16_f16 a[156+0:159+0], v[vgprValuB_X1_I0+10+0+0:vgprValuB_X1_I0+10+0+0+1], v[vgprValuA_X1_I0+8+0+0:vgprValuA_X1_I0+8+0+0+1], a[156:159]
/*  mfmaIndex:94  */
_buffer_load_b32 v[vgprG2LA+17], v[vgprGlobalReadOffsetA+17], s[sgprSrdA:sgprSrdA+3], 0, offen offset:0 // G -> Reg 0_0_17_0
v_mfma_f32_16x16x16_f16 a[152+0:155+0], v[vgprValuB_X1_I0+10+0+0:vgprValuB_X1_I0+10+0+0+1], v[vgprValuA_X1_I0+6+0+0:vgprValuA_X1_I0+6+0+0+1], a[152:155]
/*  mfmaIndex:95  */
v_mfma_f32_16x16x16_f16 a[148+0:151+0], v[vgprValuB_X1_I0+10+0+0:vgprValuB_X1_I0+10+0+0+1], v[vgprValuA_X1_I0+4+0+0:vgprValuA_X1_I0+4+0+0+1], a[148:151]
/*  mfmaIndex:96  */
/* sched write - iter 1 writesPerItem=1 */
s_waitcnt vmcnt(0)                                 // lgkmcnt=-1 vmcnt=0wait for global read before writing to local
_ds_store_b32 v[vgprLocalWriteAddrA], v[vgprG2LA+18] offset:19584 // lwoA_0_0_18_0 = (0*LSCA)*(MT0I+PAD) + (18*LSPA) = 19584
v_mfma_f32_16x16x16_f16 a[144+0:147+0], v[vgprValuB_X1_I0+10+0+0:vgprValuB_X1_I0+10+0+0+1], v[vgprValuA_X1_I0+2+0+0:vgprValuA_X1_I0+2+0+0+1], a[144:147]
/*  mfmaIndex:97  */
_buffer_load_b32 v[vgprG2LA+18], v[vgprGlobalReadOffsetA+18], s[sgprSrdA:sgprSrdA+3], 0, offen offset:0 // G -> Reg 0_0_18_0
v_mfma_f32_16x16x16_f16 a[140+0:143+0], v[vgprValuB_X1_I0+10+0+0:vgprValuB_X1_I0+10+0+0+1], v[vgprValuA_X1_I0+0+0+0:vgprValuA_X1_I0+0+0+0+1], a[140:143]
/*  mfmaIndex:98  */
/* sched write - iter 1 writesPerItem=1 */
s_waitcnt vmcnt(0)                                 // lgkmcnt=-1 vmcnt=0wait for global read before writing to local
_ds_store_b32 v[vgprLocalWriteAddrA], v[vgprG2LA+19] offset:20672 // lwoA_0_0_19_0 = (0*LSCA)*(MT0I+PAD) + (19*LSPA) = 20672
v_mfma_f32_16x16x16_f16 a[168+0:171+0], v[vgprValuB_X1_I0+12+0+0:vgprValuB_X1_I0+12+0+0+1], v[vgprValuA_X1_I0+0+0+0:vgprValuA_X1_I0+0+0+0+1], a[168:171]
/*  mfmaIndex:99  */
_buffer_load_b32 v[vgprG2LA+19], v[vgprGlobalReadOffsetA+19], s[sgprSrdA:sgprSrdA+3], 0, offen offset:0 // G -> Reg 0_0_19_0
v_mfma_f32_16x16x16_f16 a[172+0:175+0], v[vgprValuB_X1_I0+12+0+0:vgprValuB_X1_I0+12+0+0+1], v[vgprValuA_X1_I0+2+0+0:vgprValuA_X1_I0+2+0+0+1], a[172:175]
/*  mfmaIndex:100  */
v_mfma_f32_16x16x16_f16 a[176+0:179+0], v[vgprValuB_X1_I0+12+0+0:vgprValuB_X1_I0+12+0+0+1], v[vgprValuA_X1_I0+4+0+0:vgprValuA_X1_I0+4+0+0+1], a[176:179]
/*  mfmaIndex:101  */
/* sched write - iter 1 writesPerItem=1 */
s_waitcnt vmcnt(0)                                 // lgkmcnt=-1 vmcnt=0wait for global read before writing to local
_ds_store_b32 v[vgprLocalWriteAddrA], v[vgprG2LA+20] offset:21760 // lwoA_0_0_20_0 = (0*LSCA)*(MT0I+PAD) + (20*LSPA) = 21760
v_mfma_f32_16x16x16_f16 a[180+0:183+0], v[vgprValuB_X1_I0+12+0+0:vgprValuB_X1_I0+12+0+0+1], v[vgprValuA_X1_I0+6+0+0:vgprValuA_X1_I0+6+0+0+1], a[180:183]
/*  mfmaIndex:102  */
_buffer_load_b32 v[vgprG2LA+20], v[vgprGlobalReadOffsetA+20], s[sgprSrdA:sgprSrdA+3], 0, offen offset:0 // G -> Reg 0_0_20_0
v_mfma_f32_16x16x16_f16 a[184+0:187+0], v[vgprValuB_X1_I0+12+0+0:vgprValuB_X1_I0+12+0+0+1], v[vgprValuA_X1_I0+8+0+0:vgprValuA_X1_I0+8+0+0+1], a[184:187]
/*  mfmaIndex:103  */
/* sched write - iter 1 writesPerItem=1 */
s_waitcnt vmcnt(0)                                 // lgkmcnt=-1 vmcnt=0wait for global read before writing to local
_ds_store_b32 v[vgprLocalWriteAddrA], v[vgprG2LA+21] offset:22848 // lwoA_0_0_21_0 = (0*LSCA)*(MT0I+PAD) + (21*LSPA) = 22848
v_mfma_f32_16x16x16_f16 a[188+0:191+0], v[vgprValuB_X1_I0+12+0+0:vgprValuB_X1_I0+12+0+0+1], v[vgprValuA_X1_I0+10+0+0:vgprValuA_X1_I0+10+0+0+1], a[188:191]
/*  mfmaIndex:104  */
_buffer_load_b32 v[vgprG2LA+21], v[vgprGlobalReadOffsetA+21], s[sgprSrdA:sgprSrdA+3], 0, offen offset:0 // G -> Reg 0_0_21_0
v_mfma_f32_16x16x16_f16 a[192+0:195+0], v[vgprValuB_X1_I0+12+0+0:vgprValuB_X1_I0+12+0+0+1], v[vgprValuA_X1_I0+12+0+0:vgprValuA_X1_I0+12+0+0+1], a[192:195]
/*  mfmaIndex:105  */
v_mfma_f32_16x16x16_f16 a[220+0:223+0], v[vgprValuB_X1_I0+14+0+0:vgprValuB_X1_I0+14+0+0+1], v[vgprValuA_X1_I0+12+0+0:vgprValuA_X1_I0+12+0+0+1], a[220:223]
/*  mfmaIndex:106  */
/* sched write - iter 1 writesPerItem=1 */
s_waitcnt vmcnt(0)                                 // lgkmcnt=-1 vmcnt=0wait for global read before writing to local
_ds_store_b32 v[vgprLocalWriteAddrA], v[vgprG2LA+22] offset:23936 // lwoA_0_0_22_0 = (0*LSCA)*(MT0I+PAD) + (22*LSPA) = 23936
v_mfma_f32_16x16x16_f16 a[216+0:219+0], v[vgprValuB_X1_I0+14+0+0:vgprValuB_X1_I0+14+0+0+1], v[vgprValuA_X1_I0+10+0+0:vgprValuA_X1_I0+10+0+0+1], a[216:219]
/*  mfmaIndex:107  */
_buffer_load_b32 v[vgprG2LA+22], v[vgprGlobalReadOffsetA+22], s[sgprSrdA:sgprSrdA+3], 0, offen offset:0 // G -> Reg 0_0_22_0
v_mfma_f32_16x16x16_f16 a[212+0:215+0], v[vgprValuB_X1_I0+14+0+0:vgprValuB_X1_I0+14+0+0+1], v[vgprValuA_X1_I0+8+0+0:vgprValuA_X1_I0+8+0+0+1], a[212:215]
/*  mfmaIndex:108  */
/* sched write - iter 1 writesPerItem=1 */
s_waitcnt vmcnt(0)                                 // lgkmcnt=-1 vmcnt=0wait for global read before writing to local
_ds_store_b32 v[vgprLocalWriteAddrA], v[vgprG2LA+23] offset:25024 // lwoA_0_0_23_0 = (0*LSCA)*(MT0I+PAD) + (23*LSPA) = 25024
v_mfma_f32_16x16x16_f16 a[208+0:211+0], v[vgprValuB_X1_I0+14+0+0:vgprValuB_X1_I0+14+0+0+1], v[vgprValuA_X1_I0+6+0+0:vgprValuA_X1_I0+6+0+0+1], a[208:211]
/*  mfmaIndex:109  */
_buffer_load_b32 v[vgprG2LA+23], v[vgprGlobalReadOffsetA+23], s[sgprSrdA:sgprSrdA+3], 0, offen offset:0 // G -> Reg 0_0_23_0
v_mfma_f32_16x16x16_f16 a[204+0:207+0], v[vgprValuB_X1_I0+14+0+0:vgprValuB_X1_I0+14+0+0+1], v[vgprValuA_X1_I0+4+0+0:vgprValuA_X1_I0+4+0+0+1], a[204:207]
/*  mfmaIndex:110  */
v_mfma_f32_16x16x16_f16 a[200+0:203+0], v[vgprValuB_X1_I0+14+0+0:vgprValuB_X1_I0+14+0+0+1], v[vgprValuA_X1_I0+2+0+0:vgprValuA_X1_I0+2+0+0+1], a[200:203]
/*  mfmaIndex:111  */
/* sched write - iter 1 writesPerItem=1 */
s_waitcnt vmcnt(0)                                 // lgkmcnt=-1 vmcnt=0wait for global read before writing to local
_ds_store_b32 v[vgprLocalWriteAddrA], v[vgprG2LA+24] offset:26112 // lwoA_0_0_24_0 = (0*LSCA)*(MT0I+PAD) + (24*LSPA) = 26112
v_mfma_f32_16x16x16_f16 a[196+0:199+0], v[vgprValuB_X1_I0+14+0+0:vgprValuB_X1_I0+14+0+0+1], v[vgprValuA_X1_I0+0+0+0:vgprValuA_X1_I0+0+0+0+1], a[196:199]


/* iter 2 (reset local read pointers iteration)  (swap local read pointers iteration)  */

/*  grEndMfmaIndex:18, lwStartMfmaIndex:52, lwEndMfmaIndex:198  */
/*  numMfmaForLR:20, barrierMfmaIndex:203, LocalWritePerMfma:0.405 */
/*  mfmaIndex:112  */
_buffer_load_b32 v[vgprG2LA+24], v[vgprGlobalReadOffsetA+24], s[sgprSrdA:sgprSrdA+3], 0, offen offset:0 // G -> Reg 0_0_24_0
v_mfma_f32_16x16x16_f16 a[0+0:3+0], v[vgprValuB_X2_I0+0+0+0:vgprValuB_X2_I0+0+0+0+1], v[vgprValuA_X2_I0+0+0+0:vgprValuA_X2_I0+0+0+0+1], a[0:3]
/*  mfmaIndex:113  */
/* sched write - iter 2 writesPerItem=1 */
s_waitcnt vmcnt(0)                                 // lgkmcnt=-1 vmcnt=0wait for global read before writing to local
_ds_store_b32 v[vgprLocalWriteAddrA], v[vgprG2LA+25] offset:27200 // lwoA_0_0_25_0 = (0*LSCA)*(MT0I+PAD) + (25*LSPA) = 27200
v_mfma_f32_16x16x16_f16 a[4+0:7+0], v[vgprValuB_X2_I0+0+0+0:vgprValuB_X2_I0+0+0+0+1], v[vgprValuA_X2_I0+2+0+0:vgprValuA_X2_I0+2+0+0+1], a[4:7]
/*  mfmaIndex:114  */
_buffer_load_b32 v[vgprG2LA+25], v[vgprGlobalReadOffsetA+25], s[sgprSrdA:sgprSrdA+3], 0, offen offset:0 // G -> Reg 0_0_25_0
v_mfma_f32_16x16x16_f16 a[8+0:11+0], v[vgprValuB_X2_I0+0+0+0:vgprValuB_X2_I0+0+0+0+1], v[vgprValuA_X2_I0+4+0+0:vgprValuA_X2_I0+4+0+0+1], a[8:11]
/*  mfmaIndex:115  */
v_mfma_f32_16x16x16_f16 a[12+0:15+0], v[vgprValuB_X2_I0+0+0+0:vgprValuB_X2_I0+0+0+0+1], v[vgprValuA_X2_I0+6+0+0:vgprValuA_X2_I0+6+0+0+1], a[12:15]
/*  mfmaIndex:116  */
/* sched write - iter 2 writesPerItem=1 */
s_waitcnt vmcnt(0)                                 // lgkmcnt=-1 vmcnt=0wait for global read before writing to local
_ds_store_b32 v[vgprLocalWriteAddrA], v[vgprG2LA+26] offset:28288 // lwoA_0_0_26_0 = (0*LSCA)*(MT0I+PAD) + (26*LSPA) = 28288
v_mfma_f32_16x16x16_f16 a[16+0:19+0], v[vgprValuB_X2_I0+0+0+0:vgprValuB_X2_I0+0+0+0+1], v[vgprValuA_X2_I0+8+0+0:vgprValuA_X2_I0+8+0+0+1], a[16:19]
/*  mfmaIndex:117  */
_buffer_load_b32 v[vgprG2LA+26], v[vgprGlobalReadOffsetA+26], s[sgprSrdA:sgprSrdA+3], 0, offen offset:0 // G -> Reg 0_0_26_0
v_mfma_f32_16x16x16_f16 a[20+0:23+0], v[vgprValuB_X2_I0+0+0+0:vgprValuB_X2_I0+0+0+0+1], v[vgprValuA_X2_I0+10+0+0:vgprValuA_X2_I0+10+0+0+1], a[20:23]
/*  mfmaIndex:118  */
/* sched write - iter 2 writesPerItem=1 */
s_waitcnt vmcnt(0)                                 // lgkmcnt=-1 vmcnt=0wait for global read before writing to local
_ds_store_b32 v[vgprLocalWriteAddrA], v[vgprG2LA+27] offset:29376 // lwoA_0_0_27_0 = (0*LSCA)*(MT0I+PAD) + (27*LSPA) = 29376
v_mfma_f32_16x16x16_f16 a[24+0:27+0], v[vgprValuB_X2_I0+0+0+0:vgprValuB_X2_I0+0+0+0+1], v[vgprValuA_X2_I0+12+0+0:vgprValuA_X2_I0+12+0+0+1], a[24:27]
/*  mfmaIndex:119  */
_buffer_load_b32 v[vgprG2LA+27], v[vgprGlobalReadOffsetA+27], s[sgprSrdA:sgprSrdA+3], 0, offen offset:0 // G -> Reg 0_0_27_0
v_mfma_f32_16x16x16_f16 a[52+0:55+0], v[vgprValuB_X2_I0+2+0+0:vgprValuB_X2_I0+2+0+0+1], v[vgprValuA_X2_I0+12+0+0:vgprValuA_X2_I0+12+0+0+1], a[52:55]
/*  mfmaIndex:120  */
v_mfma_f32_16x16x16_f16 a[48+0:51+0], v[vgprValuB_X2_I0+2+0+0:vgprValuB_X2_I0+2+0+0+1], v[vgprValuA_X2_I0+10+0+0:vgprValuA_X2_I0+10+0+0+1], a[48:51]
/*  mfmaIndex:121  */
/* sched write - iter 2 writesPerItem=1 */
s_waitcnt vmcnt(0)                                 // lgkmcnt=-1 vmcnt=0wait for global read before writing to local
_ds_store_b32 v[vgprLocalWriteAddrB], v[vgprG2LB+0] offset:0 // lwoB_0_0_0_0 = (0*LSCB)*(MT1J+PAD) + (0*LSPB) = 0
v_mfma_f32_16x16x16_f16 a[44+0:47+0], v[vgprValuB_X2_I0+2+0+0:vgprValuB_X2_I0+2+0+0+1], v[vgprValuA_X2_I0+8+0+0:vgprValuA_X2_I0+8+0+0+1], a[44:47]
/*  mfmaIndex:122  */
_buffer_load_b32 v[vgprG2LB+0], v[vgprGlobalReadOffsetB+0], s[sgprSrdB:sgprSrdB+3], 0, offen offset:0 // G -> Reg 0_0_0_0
v_mfma_f32_16x16x16_f16 a[40+0:43+0], v[vgprValuB_X2_I0+2+0+0:vgprValuB_X2_I0+2+0+0+1], v[vgprValuA_X2_I0+6+0+0:vgprValuA_X2_I0+6+0+0+1], a[40:43]
/*  mfmaIndex:123  */
/* sched write - iter 2 writesPerItem=1 */
s_waitcnt vmcnt(0)                                 // lgkmcnt=-1 vmcnt=0wait for global read before writing to local
_ds_store_b32 v[vgprLocalWriteAddrB], v[vgprG2LB+1] offset:1088 // lwoB_0_0_1_0 = (0*LSCB)*(MT1J+PAD) + (1*LSPB) = 1088
v_mfma_f32_16x16x16_f16 a[36+0:39+0], v[vgprValuB_X2_I0+2+0+0:vgprValuB_X2_I0+2+0+0+1], v[vgprValuA_X2_I0+4+0+0:vgprValuA_X2_I0+4+0+0+1], a[36:39]
/*  mfmaIndex:124  */
_buffer_load_b32 v[vgprG2LB+1], v[vgprGlobalReadOffsetB+1], s[sgprSrdB:sgprSrdB+3], 0, offen offset:0 // G -> Reg 0_0_1_0
v_mfma_f32_16x16x16_f16 a[32+0:35+0], v[vgprValuB_X2_I0+2+0+0:vgprValuB_X2_I0+2+0+0+1], v[vgprValuA_X2_I0+2+0+0:vgprValuA_X2_I0+2+0+0+1], a[32:35]
/*  mfmaIndex:125  */
v_mfma_f32_16x16x16_f16 a[28+0:31+0], v[vgprValuB_X2_I0+2+0+0:vgprValuB_X2_I0+2+0+0+1], v[vgprValuA_X2_I0+0+0+0:vgprValuA_X2_I0+0+0+0+1], a[28:31]
/*  mfmaIndex:126  */
/* sched write - iter 2 writesPerItem=1 */
s_waitcnt vmcnt(0)                                 // lgkmcnt=-1 vmcnt=0wait for global read before writing to local
_ds_store_b32 v[vgprLocalWriteAddrB], v[vgprG2LB+2] offset:2176 // lwoB_0_0_2_0 = (0*LSCB)*(MT1J+PAD) + (2*LSPB) = 2176
v_mfma_f32_16x16x16_f16 a[56+0:59+0], v[vgprValuB_X2_I0+4+0+0:vgprValuB_X2_I0+4+0+0+1], v[vgprValuA_X2_I0+0+0+0:vgprValuA_X2_I0+0+0+0+1], a[56:59]
/*  mfmaIndex:127  */
_buffer_load_b32 v[vgprG2LB+2], v[vgprGlobalReadOffsetB+2], s[sgprSrdB:sgprSrdB+3], 0, offen offset:0 // G -> Reg 0_0_2_0
v_mfma_f32_16x16x16_f16 a[60+0:63+0], v[vgprValuB_X2_I0+4+0+0:vgprValuB_X2_I0+4+0+0+1], v[vgprValuA_X2_I0+2+0+0:vgprValuA_X2_I0+2+0+0+1], a[60:63]
/*  mfmaIndex:128  */
/* sched write - iter 2 writesPerItem=1 */
s_waitcnt vmcnt(0)                                 // lgkmcnt=-1 vmcnt=0wait for global read before writing to local
_ds_store_b32 v[vgprLocalWriteAddrB], v[vgprG2LB+3] offset:3264 // lwoB_0_0_3_0 = (0*LSCB)*(MT1J+PAD) + (3*LSPB) = 3264
v_mfma_f32_16x16x16_f16 a[64+0:67+0], v[vgprValuB_X2_I0+4+0+0:vgprValuB_X2_I0+4+0+0+1], v[vgprValuA_X2_I0+4+0+0:vgprValuA_X2_I0+4+0+0+1], a[64:67]
/*  mfmaIndex:129  */
_buffer_load_b32 v[vgprG2LB+3], v[vgprGlobalReadOffsetB+3], s[sgprSrdB:sgprSrdB+3], 0, offen offset:0 // G -> Reg 0_0_3_0
v_mfma_f32_16x16x16_f16 a[68+0:71+0], v[vgprValuB_X2_I0+4+0+0:vgprValuB_X2_I0+4+0+0+1], v[vgprValuA_X2_I0+6+0+0:vgprValuA_X2_I0+6+0+0+1], a[68:71]
/*  mfmaIndex:130  */
v_mfma_f32_16x16x16_f16 a[72+0:75+0], v[vgprValuB_X2_I0+4+0+0:vgprValuB_X2_I0+4+0+0+1], v[vgprValuA_X2_I0+8+0+0:vgprValuA_X2_I0+8+0+0+1], a[72:75]
/*  mfmaIndex:131  */
/* sched write - iter 2 writesPerItem=1 */
s_waitcnt vmcnt(0)                                 // lgkmcnt=-1 vmcnt=0wait for global read before writing to local
_ds_store_b32 v[vgprLocalWriteAddrB], v[vgprG2LB+4] offset:4352 // lwoB_0_0_4_0 = (0*LSCB)*(MT1J+PAD) + (4*LSPB) = 4352
v_mfma_f32_16x16x16_f16 a[76+0:79+0], v[vgprValuB_X2_I0+4+0+0:vgprValuB_X2_I0+4+0+0+1], v[vgprValuA_X2_I0+10+0+0:vgprValuA_X2_I0+10+0+0+1], a[76:79]
/*  mfmaIndex:132  */
_buffer_load_b32 v[vgprG2LB+4], v[vgprGlobalReadOffsetB+4], s[sgprSrdB:sgprSrdB+3], 0, offen offset:0 // G -> Reg 0_0_4_0
v_mfma_f32_16x16x16_f16 a[80+0:83+0], v[vgprValuB_X2_I0+4+0+0:vgprValuB_X2_I0+4+0+0+1], v[vgprValuA_X2_I0+12+0+0:vgprValuA_X2_I0+12+0+0+1], a[80:83]
/*  mfmaIndex:133  */
/* sched write - iter 2 writesPerItem=1 */
s_waitcnt vmcnt(0)                                 // lgkmcnt=-1 vmcnt=0wait for global read before writing to local
_ds_store_b32 v[vgprLocalWriteAddrB], v[vgprG2LB+5] offset:5440 // lwoB_0_0_5_0 = (0*LSCB)*(MT1J+PAD) + (5*LSPB) = 5440
v_mfma_f32_16x16x16_f16 a[108+0:111+0], v[vgprValuB_X2_I0+6+0+0:vgprValuB_X2_I0+6+0+0+1], v[vgprValuA_X2_I0+12+0+0:vgprValuA_X2_I0+12+0+0+1], a[108:111]
/*  mfmaIndex:134  */
_buffer_load_b32 v[vgprG2LB+5], v[vgprGlobalReadOffsetB+5], s[sgprSrdB:sgprSrdB+3], 0, offen offset:0 // G -> Reg 0_0_5_0
v_mfma_f32_16x16x16_f16 a[104+0:107+0], v[vgprValuB_X2_I0+6+0+0:vgprValuB_X2_I0+6+0+0+1], v[vgprValuA_X2_I0+10+0+0:vgprValuA_X2_I0+10+0+0+1], a[104:107]
/*  mfmaIndex:135  */
/* sched write - iter 2 writesPerItem=1 */
s_waitcnt vmcnt(0)                                 // lgkmcnt=-1 vmcnt=0wait for global read before writing to local
_ds_store_b32 v[vgprLocalWriteAddrB], v[vgprG2LB+6] offset:6528 // lwoB_0_0_6_0 = (0*LSCB)*(MT1J+PAD) + (6*LSPB) = 6528
v_mfma_f32_16x16x16_f16 a[100+0:103+0], v[vgprValuB_X2_I0+6+0+0:vgprValuB_X2_I0+6+0+0+1], v[vgprValuA_X2_I0+8+0+0:vgprValuA_X2_I0+8+0+0+1], a[100:103]
/*  mfmaIndex:136  */
_buffer_load_b32 v[vgprG2LB+6], v[vgprGlobalReadOffsetB+6], s[sgprSrdB:sgprSrdB+3], 0, offen offset:0 // G -> Reg 0_0_6_0
v_mfma_f32_16x16x16_f16 a[96+0:99+0], v[vgprValuB_X2_I0+6+0+0:vgprValuB_X2_I0+6+0+0+1], v[vgprValuA_X2_I0+6+0+0:vgprValuA_X2_I0+6+0+0+1], a[96:99]
/*  mfmaIndex:137  */
v_mfma_f32_16x16x16_f16 a[92+0:95+0], v[vgprValuB_X2_I0+6+0+0:vgprValuB_X2_I0+6+0+0+1], v[vgprValuA_X2_I0+4+0+0:vgprValuA_X2_I0+4+0+0+1], a[92:95]
/*  mfmaIndex:138  */
/* sched write - iter 2 writesPerItem=1 */
s_waitcnt vmcnt(0)                                 // lgkmcnt=-1 vmcnt=0wait for global read before writing to local
_ds_store_b32 v[vgprLocalWriteAddrB], v[vgprG2LB+7] offset:7616 // lwoB_0_0_7_0 = (0*LSCB)*(MT1J+PAD) + (7*LSPB) = 7616
v_mfma_f32_16x16x16_f16 a[88+0:91+0], v[vgprValuB_X2_I0+6+0+0:vgprValuB_X2_I0+6+0+0+1], v[vgprValuA_X2_I0+2+0+0:vgprValuA_X2_I0+2+0+0+1], a[88:91]
/*  mfmaIndex:139  */
_buffer_load_b32 v[vgprG2LB+7], v[vgprGlobalReadOffsetB+7], s[sgprSrdB:sgprSrdB+3], 0, offen offset:0 // G -> Reg 0_0_7_0
v_mfma_f32_16x16x16_f16 a[84+0:87+0], v[vgprValuB_X2_I0+6+0+0:vgprValuB_X2_I0+6+0+0+1], v[vgprValuA_X2_I0+0+0+0:vgprValuA_X2_I0+0+0+0+1], a[84:87]
/*  mfmaIndex:140  */
/* sched write - iter 2 writesPerItem=1 */
s_waitcnt vmcnt(0)                                 // lgkmcnt=-1 vmcnt=0wait for global read before writing to local
_ds_store_b32 v[vgprLocalWriteAddrB], v[vgprG2LB+8] offset:8704 // lwoB_0_0_8_0 = (0*LSCB)*(MT1J+PAD) + (8*LSPB) = 8704
v_mfma_f32_16x16x16_f16 a[112+0:115+0], v[vgprValuB_X2_I0+8+0+0:vgprValuB_X2_I0+8+0+0+1], v[vgprValuA_X2_I0+0+0+0:vgprValuA_X2_I0+0+0+0+1], a[112:115]
/*  mfmaIndex:141  */
_buffer_load_b32 v[vgprG2LB+8], v[vgprGlobalReadOffsetB+8], s[sgprSrdB:sgprSrdB+3], 0, offen offset:0 // G -> Reg 0_0_8_0
v_mfma_f32_16x16x16_f16 a[116+0:119+0], v[vgprValuB_X2_I0+8+0+0:vgprValuB_X2_I0+8+0+0+1], v[vgprValuA_X2_I0+2+0+0:vgprValuA_X2_I0+2+0+0+1], a[116:119]
/*  mfmaIndex:142  */
v_mfma_f32_16x16x16_f16 a[120+0:123+0], v[vgprValuB_X2_I0+8+0+0:vgprValuB_X2_I0+8+0+0+1], v[vgprValuA_X2_I0+4+0+0:vgprValuA_X2_I0+4+0+0+1], a[120:123]
/*  mfmaIndex:143  */
/* sched write - iter 2 writesPerItem=1 */
s_waitcnt vmcnt(0)                                 // lgkmcnt=-1 vmcnt=0wait for global read before writing to local
_ds_store_b32 v[vgprLocalWriteAddrB], v[vgprG2LB+9] offset:9792 // lwoB_0_0_9_0 = (0*LSCB)*(MT1J+PAD) + (9*LSPB) = 9792
v_mfma_f32_16x16x16_f16 a[124+0:127+0], v[vgprValuB_X2_I0+8+0+0:vgprValuB_X2_I0+8+0+0+1], v[vgprValuA_X2_I0+6+0+0:vgprValuA_X2_I0+6+0+0+1], a[124:127]
/*  mfmaIndex:144  */
_buffer_load_b32 v[vgprG2LB+9], v[vgprGlobalReadOffsetB+9], s[sgprSrdB:sgprSrdB+3], 0, offen offset:0 // G -> Reg 0_0_9_0
v_mfma_f32_16x16x16_f16 a[128+0:131+0], v[vgprValuB_X2_I0+8+0+0:vgprValuB_X2_I0+8+0+0+1], v[vgprValuA_X2_I0+8+0+0:vgprValuA_X2_I0+8+0+0+1], a[128:131]
/*  mfmaIndex:145  */
/* sched write - iter 2 writesPerItem=1 */
s_waitcnt vmcnt(0)                                 // lgkmcnt=-1 vmcnt=0wait for global read before writing to local
_ds_store_b32 v[vgprLocalWriteAddrB], v[vgprG2LB+10] offset:10880 // lwoB_0_0_10_0 = (0*LSCB)*(MT1J+PAD) + (10*LSPB) = 10880
v_mfma_f32_16x16x16_f16 a[132+0:135+0], v[vgprValuB_X2_I0+8+0+0:vgprValuB_X2_I0+8+0+0+1], v[vgprValuA_X2_I0+10+0+0:vgprValuA_X2_I0+10+0+0+1], a[132:135]
/*  mfmaIndex:146  */
_buffer_load_b32 v[vgprG2LB+10], v[vgprGlobalReadOffsetB+10], s[sgprSrdB:sgprSrdB+3], 0, offen offset:0 // G -> Reg 0_0_10_0
v_mfma_f32_16x16x16_f16 a[136+0:139+0], v[vgprValuB_X2_I0+8+0+0:vgprValuB_X2_I0+8+0+0+1], v[vgprValuA_X2_I0+12+0+0:vgprValuA_X2_I0+12+0+0+1], a[136:139]
/*  mfmaIndex:147  */
v_mfma_f32_16x16x16_f16 a[164+0:167+0], v[vgprValuB_X2_I0+10+0+0:vgprValuB_X2_I0+10+0+0+1], v[vgprValuA_X2_I0+12+0+0:vgprValuA_X2_I0+12+0+0+1], a[164:167]
/*  mfmaIndex:148  */
/* sched write - iter 2 writesPerItem=1 */
s_waitcnt vmcnt(0)                                 // lgkmcnt=-1 vmcnt=0wait for global read before writing to local
_ds_store_b32 v[vgprLocalWriteAddrB], v[vgprG2LB+11] offset:11968 // lwoB_0_0_11_0 = (0*LSCB)*(MT1J+PAD) + (11*LSPB) = 11968
v_mfma_f32_16x16x16_f16 a[160+0:163+0], v[vgprValuB_X2_I0+10+0+0:vgprValuB_X2_I0+10+0+0+1], v[vgprValuA_X2_I0+10+0+0:vgprValuA_X2_I0+10+0+0+1], a[160:163]
/*  mfmaIndex:149  */
_buffer_load_b32 v[vgprG2LB+11], v[vgprGlobalReadOffsetB+11], s[sgprSrdB:sgprSrdB+3], 0, offen offset:0 // G -> Reg 0_0_11_0
v_mfma_f32_16x16x16_f16 a[156+0:159+0], v[vgprValuB_X2_I0+10+0+0:vgprValuB_X2_I0+10+0+0+1], v[vgprValuA_X2_I0+8+0+0:vgprValuA_X2_I0+8+0+0+1], a[156:159]
/*  mfmaIndex:150  */
/* sched write - iter 2 writesPerItem=1 */
s_waitcnt vmcnt(0)                                 // lgkmcnt=-1 vmcnt=0wait for global read before writing to local
_ds_store_b32 v[vgprLocalWriteAddrB], v[vgprG2LB+12] offset:13056 // lwoB_0_0_12_0 = (0*LSCB)*(MT1J+PAD) + (12*LSPB) = 13056
v_mfma_f32_16x16x16_f16 a[152+0:155+0], v[vgprValuB_X2_I0+10+0+0:vgprValuB_X2_I0+10+0+0+1], v[vgprValuA_X2_I0+6+0+0:vgprValuA_X2_I0+6+0+0+1], a[152:155]
/*  mfmaIndex:151  */
_buffer_load_b32 v[vgprG2LB+12], v[vgprGlobalReadOffsetB+12], s[sgprSrdB:sgprSrdB+3], 0, offen offset:0 // G -> Reg 0_0_12_0
v_mfma_f32_16x16x16_f16 a[148+0:151+0], v[vgprValuB_X2_I0+10+0+0:vgprValuB_X2_I0+10+0+0+1], v[vgprValuA_X2_I0+4+0+0:vgprValuA_X2_I0+4+0+0+1], a[148:151]
/*  mfmaIndex:152  */
v_mfma_f32_16x16x16_f16 a[144+0:147+0], v[vgprValuB_X2_I0+10+0+0:vgprValuB_X2_I0+10+0+0+1], v[vgprValuA_X2_I0+2+0+0:vgprValuA_X2_I0+2+0+0+1], a[144:147]
/*  mfmaIndex:153  */
/* sched write - iter 2 writesPerItem=1 */
s_waitcnt vmcnt(0)                                 // lgkmcnt=-1 vmcnt=0wait for global read before writing to local
_ds_store_b32 v[vgprLocalWriteAddrB], v[vgprG2LB+13] offset:14144 // lwoB_0_0_13_0 = (0*LSCB)*(MT1J+PAD) + (13*LSPB) = 14144
v_mfma_f32_16x16x16_f16 a[140+0:143+0], v[vgprValuB_X2_I0+10+0+0:vgprValuB_X2_I0+10+0+0+1], v[vgprValuA_X2_I0+0+0+0:vgprValuA_X2_I0+0+0+0+1], a[140:143]
/*  mfmaIndex:154  */
_buffer_load_b32 v[vgprG2LB+13], v[vgprGlobalReadOffsetB+13], s[sgprSrdB:sgprSrdB+3], 0, offen offset:0 // G -> Reg 0_0_13_0
v_mfma_f32_16x16x16_f16 a[168+0:171+0], v[vgprValuB_X2_I0+12+0+0:vgprValuB_X2_I0+12+0+0+1], v[vgprValuA_X2_I0+0+0+0:vgprValuA_X2_I0+0+0+0+1], a[168:171]
/*  mfmaIndex:155  */
/* sched write - iter 2 writesPerItem=1 */
s_waitcnt vmcnt(0)                                 // lgkmcnt=-1 vmcnt=0wait for global read before writing to local
_ds_store_b32 v[vgprLocalWriteAddrB], v[vgprG2LB+14] offset:15232 // lwoB_0_0_14_0 = (0*LSCB)*(MT1J+PAD) + (14*LSPB) = 15232
v_mfma_f32_16x16x16_f16 a[172+0:175+0], v[vgprValuB_X2_I0+12+0+0:vgprValuB_X2_I0+12+0+0+1], v[vgprValuA_X2_I0+2+0+0:vgprValuA_X2_I0+2+0+0+1], a[172:175]
/*  mfmaIndex:156  */
_buffer_load_b32 v[vgprG2LB+14], v[vgprGlobalReadOffsetB+14], s[sgprSrdB:sgprSrdB+3], 0, offen offset:0 // G -> Reg 0_0_14_0
v_mfma_f32_16x16x16_f16 a[176+0:179+0], v[vgprValuB_X2_I0+12+0+0:vgprValuB_X2_I0+12+0+0+1], v[vgprValuA_X2_I0+4+0+0:vgprValuA_X2_I0+4+0+0+1], a[176:179]
/*  mfmaIndex:157  */
v_mfma_f32_16x16x16_f16 a[180+0:183+0], v[vgprValuB_X2_I0+12+0+0:vgprValuB_X2_I0+12+0+0+1], v[vgprValuA_X2_I0+6+0+0:vgprValuA_X2_I0+6+0+0+1], a[180:183]
/*  mfmaIndex:158  */
/* sched write - iter 2 writesPerItem=1 */
s_waitcnt vmcnt(0)                                 // lgkmcnt=-1 vmcnt=0wait for global read before writing to local
_ds_store_b32 v[vgprLocalWriteAddrB], v[vgprG2LB+15] offset:16320 // lwoB_0_0_15_0 = (0*LSCB)*(MT1J+PAD) + (15*LSPB) = 16320
v_mfma_f32_16x16x16_f16 a[184+0:187+0], v[vgprValuB_X2_I0+12+0+0:vgprValuB_X2_I0+12+0+0+1], v[vgprValuA_X2_I0+8+0+0:vgprValuA_X2_I0+8+0+0+1], a[184:187]
/*  mfmaIndex:159  */
_buffer_load_b32 v[vgprG2LB+15], v[vgprGlobalReadOffsetB+15], s[sgprSrdB:sgprSrdB+3], 0, offen offset:0 // G -> Reg 0_0_15_0
v_mfma_f32_16x16x16_f16 a[188+0:191+0], v[vgprValuB_X2_I0+12+0+0:vgprValuB_X2_I0+12+0+0+1], v[vgprValuA_X2_I0+10+0+0:vgprValuA_X2_I0+10+0+0+1], a[188:191]
/*  mfmaIndex:160  */
/* sched write - iter 2 writesPerItem=1 */
s_waitcnt vmcnt(0)                                 // lgkmcnt=-1 vmcnt=0wait for global read before writing to local
_ds_store_b32 v[vgprLocalWriteAddrB], v[vgprG2LB+16] offset:17408 // lwoB_0_0_16_0 = (0*LSCB)*(MT1J+PAD) + (16*LSPB) = 17408
v_mfma_f32_16x16x16_f16 a[192+0:195+0], v[vgprValuB_X2_I0+12+0+0:vgprValuB_X2_I0+12+0+0+1], v[vgprValuA_X2_I0+12+0+0:vgprValuA_X2_I0+12+0+0+1], a[192:195]
/*  mfmaIndex:161  */
_buffer_load_b32 v[vgprG2LB+16], v[vgprGlobalReadOffsetB+16], s[sgprSrdB:sgprSrdB+3], 0, offen offset:0 // G -> Reg 0_0_16_0
v_mfma_f32_16x16x16_f16 a[220+0:223+0], v[vgprValuB_X2_I0+14+0+0:vgprValuB_X2_I0+14+0+0+1], v[vgprValuA_X2_I0+12+0+0:vgprValuA_X2_I0+12+0+0+1], a[220:223]
/*  mfmaIndex:162  */
v_mfma_f32_16x16x16_f16 a[216+0:219+0], v[vgprValuB_X2_I0+14+0+0:vgprValuB_X2_I0+14+0+0+1], v[vgprValuA_X2_I0+10+0+0:vgprValuA_X2_I0+10+0+0+1], a[216:219]
/*  mfmaIndex:163  */
/* sched write - iter 2 writesPerItem=1 */
s_waitcnt vmcnt(0)                                 // lgkmcnt=-1 vmcnt=0wait for global read before writing to local
_ds_store_b32 v[vgprLocalWriteAddrB], v[vgprG2LB+17] offset:18496 // lwoB_0_0_17_0 = (0*LSCB)*(MT1J+PAD) + (17*LSPB) = 18496
v_mfma_f32_16x16x16_f16 a[212+0:215+0], v[vgprValuB_X2_I0+14+0+0:vgprValuB_X2_I0+14+0+0+1], v[vgprValuA_X2_I0+8+0+0:vgprValuA_X2_I0+8+0+0+1], a[212:215]
/*  mfmaIndex:164  */
_buffer_load_b32 v[vgprG2LB+17], v[vgprGlobalReadOffsetB+17], s[sgprSrdB:sgprSrdB+3], 0, offen offset:0 // G -> Reg 0_0_17_0
v_mfma_f32_16x16x16_f16 a[208+0:211+0], v[vgprValuB_X2_I0+14+0+0:vgprValuB_X2_I0+14+0+0+1], v[vgprValuA_X2_I0+6+0+0:vgprValuA_X2_I0+6+0+0+1], a[208:211]
/*  mfmaIndex:165  */
/* sched write - iter 2 writesPerItem=1 */
s_waitcnt vmcnt(0)                                 // lgkmcnt=-1 vmcnt=0wait for global read before writing to local
_ds_store_b32 v[vgprLocalWriteAddrB], v[vgprG2LB+18] offset:19584 // lwoB_0_0_18_0 = (0*LSCB)*(MT1J+PAD) + (18*LSPB) = 19584
v_mfma_f32_16x16x16_f16 a[204+0:207+0], v[vgprValuB_X2_I0+14+0+0:vgprValuB_X2_I0+14+0+0+1], v[vgprValuA_X2_I0+4+0+0:vgprValuA_X2_I0+4+0+0+1], a[204:207]
/*  mfmaIndex:166  */
_buffer_load_b32 v[vgprG2LB+18], v[vgprGlobalReadOffsetB+18], s[sgprSrdB:sgprSrdB+3], 0, offen offset:0 // G -> Reg 0_0_18_0
v_mfma_f32_16x16x16_f16 a[200+0:203+0], v[vgprValuB_X2_I0+14+0+0:vgprValuB_X2_I0+14+0+0+1], v[vgprValuA_X2_I0+2+0+0:vgprValuA_X2_I0+2+0+0+1], a[200:203]
/*  mfmaIndex:167  */

/* local read swap offsets a */

/* local read swap offsets b */

/* local read init pointers a */

/* localReadInitPointers */

/* local read init pointers b */

/* localReadInitPointers */
v_mfma_f32_16x16x16_f16 a[196+0:199+0], v[vgprValuB_X2_I0+14+0+0:vgprValuB_X2_I0+14+0+0+1], v[vgprValuA_X2_I0+0+0+0:vgprValuA_X2_I0+0+0+0+1], a[196:199]


/* iter 3 (swap and reset local write pointers iteration)  */

/*  grEndMfmaIndex:18, lwStartMfmaIndex:52, lwEndMfmaIndex:198  */
/*  numMfmaForLR:20, barrierMfmaIndex:203, LocalWritePerMfma:0.405 */
/*  mfmaIndex:168  */
/* sched write - iter 3 writesPerItem=1 */
s_waitcnt vmcnt(0)                                 // lgkmcnt=-1 vmcnt=0wait for global read before writing to local
_ds_store_b32 v[vgprLocalWriteAddrB], v[vgprG2LB+19] offset:20672 // lwoB_0_0_19_0 = (0*LSCB)*(MT1J+PAD) + (19*LSPB) = 20672
v_mfma_f32_16x16x16_f16 a[0+0:3+0], v[vgprValuB_X3_I0+0+0+0:vgprValuB_X3_I0+0+0+0+1], v[vgprValuA_X3_I0+0+0+0:vgprValuA_X3_I0+0+0+0+1], a[0:3]
/*  mfmaIndex:169  */
_buffer_load_b32 v[vgprG2LB+19], v[vgprGlobalReadOffsetB+19], s[sgprSrdB:sgprSrdB+3], 0, offen offset:0 // G -> Reg 0_0_19_0
v_mfma_f32_16x16x16_f16 a[4+0:7+0], v[vgprValuB_X3_I0+0+0+0:vgprValuB_X3_I0+0+0+0+1], v[vgprValuA_X3_I0+2+0+0:vgprValuA_X3_I0+2+0+0+1], a[4:7]
/*  mfmaIndex:170  */
/* sched write - iter 3 writesPerItem=1 */
s_waitcnt vmcnt(0)                                 // lgkmcnt=-1 vmcnt=0wait for global read before writing to local
_ds_store_b32 v[vgprLocalWriteAddrB], v[vgprG2LB+20] offset:21760 // lwoB_0_0_20_0 = (0*LSCB)*(MT1J+PAD) + (20*LSPB) = 21760
v_mfma_f32_16x16x16_f16 a[8+0:11+0], v[vgprValuB_X3_I0+0+0+0:vgprValuB_X3_I0+0+0+0+1], v[vgprValuA_X3_I0+4+0+0:vgprValuA_X3_I0+4+0+0+1], a[8:11]
/*  mfmaIndex:171  */
_buffer_load_b32 v[vgprG2LB+20], v[vgprGlobalReadOffsetB+20], s[sgprSrdB:sgprSrdB+3], 0, offen offset:0 // G -> Reg 0_0_20_0
v_mfma_f32_16x16x16_f16 a[12+0:15+0], v[vgprValuB_X3_I0+0+0+0:vgprValuB_X3_I0+0+0+0+1], v[vgprValuA_X3_I0+6+0+0:vgprValuA_X3_I0+6+0+0+1], a[12:15]
/*  mfmaIndex:172  */
/* sched write - iter 3 writesPerItem=1 */
s_waitcnt vmcnt(0)                                 // lgkmcnt=-1 vmcnt=0wait for global read before writing to local
_ds_store_b32 v[vgprLocalWriteAddrB], v[vgprG2LB+21] offset:22848 // lwoB_0_0_21_0 = (0*LSCB)*(MT1J+PAD) + (21*LSPB) = 22848
v_mfma_f32_16x16x16_f16 a[16+0:19+0], v[vgprValuB_X3_I0+0+0+0:vgprValuB_X3_I0+0+0+0+1], v[vgprValuA_X3_I0+8+0+0:vgprValuA_X3_I0+8+0+0+1], a[16:19]
/*  mfmaIndex:173  */
_buffer_load_b32 v[vgprG2LB+21], v[vgprGlobalReadOffsetB+21], s[sgprSrdB:sgprSrdB+3], 0, offen offset:0 // G -> Reg 0_0_21_0
v_mfma_f32_16x16x16_f16 a[20+0:23+0], v[vgprValuB_X3_I0+0+0+0:vgprValuB_X3_I0+0+0+0+1], v[vgprValuA_X3_I0+10+0+0:vgprValuA_X3_I0+10+0+0+1], a[20:23]
/*  mfmaIndex:174  */
v_mfma_f32_16x16x16_f16 a[24+0:27+0], v[vgprValuB_X3_I0+0+0+0:vgprValuB_X3_I0+0+0+0+1], v[vgprValuA_X3_I0+12+0+0:vgprValuA_X3_I0+12+0+0+1], a[24:27]
/*  mfmaIndex:175  */
/* sched write - iter 3 writesPerItem=1 */
s_waitcnt vmcnt(0)                                 // lgkmcnt=-1 vmcnt=0wait for global read before writing to local
_ds_store_b32 v[vgprLocalWriteAddrB], v[vgprG2LB+22] offset:23936 // lwoB_0_0_22_0 = (0*LSCB)*(MT1J+PAD) + (22*LSPB) = 23936
v_mfma_f32_16x16x16_f16 a[52+0:55+0], v[vgprValuB_X3_I0+2+0+0:vgprValuB_X3_I0+2+0+0+1], v[vgprValuA_X3_I0+12+0+0:vgprValuA_X3_I0+12+0+0+1], a[52:55]
/*  mfmaIndex:176  */
_buffer_load_b32 v[vgprG2LB+22], v[vgprGlobalReadOffsetB+22], s[sgprSrdB:sgprSrdB+3], 0, offen offset:0 // G -> Reg 0_0_22_0
v_mfma_f32_16x16x16_f16 a[48+0:51+0], v[vgprValuB_X3_I0+2+0+0:vgprValuB_X3_I0+2+0+0+1], v[vgprValuA_X3_I0+10+0+0:vgprValuA_X3_I0+10+0+0+1], a[48:51]
/*  mfmaIndex:177  */
/* sched write - iter 3 writesPerItem=1 */
s_waitcnt vmcnt(0)                                 // lgkmcnt=-1 vmcnt=0wait for global read before writing to local
_ds_store_b32 v[vgprLocalWriteAddrB], v[vgprG2LB+23] offset:25024 // lwoB_0_0_23_0 = (0*LSCB)*(MT1J+PAD) + (23*LSPB) = 25024
v_mfma_f32_16x16x16_f16 a[44+0:47+0], v[vgprValuB_X3_I0+2+0+0:vgprValuB_X3_I0+2+0+0+1], v[vgprValuA_X3_I0+8+0+0:vgprValuA_X3_I0+8+0+0+1], a[44:47]
/*  mfmaIndex:178  */
_buffer_load_b32 v[vgprG2LB+23], v[vgprGlobalReadOffsetB+23], s[sgprSrdB:sgprSrdB+3], 0, offen offset:0 // G -> Reg 0_0_23_0
v_mfma_f32_16x16x16_f16 a[40+0:43+0], v[vgprValuB_X3_I0+2+0+0:vgprValuB_X3_I0+2+0+0+1], v[vgprValuA_X3_I0+6+0+0:vgprValuA_X3_I0+6+0+0+1], a[40:43]
/*  mfmaIndex:179  */
v_mfma_f32_16x16x16_f16 a[36+0:39+0], v[vgprValuB_X3_I0+2+0+0:vgprValuB_X3_I0+2+0+0+1], v[vgprValuA_X3_I0+4+0+0:vgprValuA_X3_I0+4+0+0+1], a[36:39]
/*  mfmaIndex:180  */
/* sched write - iter 3 writesPerItem=1 */
s_waitcnt vmcnt(0)                                 // lgkmcnt=-1 vmcnt=0wait for global read before writing to local
_ds_store_b32 v[vgprLocalWriteAddrB], v[vgprG2LB+24] offset:26112 // lwoB_0_0_24_0 = (0*LSCB)*(MT1J+PAD) + (24*LSPB) = 26112
v_mfma_f32_16x16x16_f16 a[32+0:35+0], v[vgprValuB_X3_I0+2+0+0:vgprValuB_X3_I0+2+0+0+1], v[vgprValuA_X3_I0+2+0+0:vgprValuA_X3_I0+2+0+0+1], a[32:35]
/*  mfmaIndex:181  */
_buffer_load_b32 v[vgprG2LB+24], v[vgprGlobalReadOffsetB+24], s[sgprSrdB:sgprSrdB+3], 0, offen offset:0 // G -> Reg 0_0_24_0
v_mfma_f32_16x16x16_f16 a[28+0:31+0], v[vgprValuB_X3_I0+2+0+0:vgprValuB_X3_I0+2+0+0+1], v[vgprValuA_X3_I0+0+0+0:vgprValuA_X3_I0+0+0+0+1], a[28:31]
/*  mfmaIndex:182  */
/* sched write - iter 3 writesPerItem=1 */
s_waitcnt vmcnt(0)                                 // lgkmcnt=-1 vmcnt=0wait for global read before writing to local
_ds_store_b32 v[vgprLocalWriteAddrB], v[vgprG2LB+25] offset:27200 // lwoB_0_0_25_0 = (0*LSCB)*(MT1J+PAD) + (25*LSPB) = 27200
v_mfma_f32_16x16x16_f16 a[56+0:59+0], v[vgprValuB_X3_I0+4+0+0:vgprValuB_X3_I0+4+0+0+1], v[vgprValuA_X3_I0+0+0+0:vgprValuA_X3_I0+0+0+0+1], a[56:59]
/*  mfmaIndex:183  */
_buffer_load_b32 v[vgprG2LB+25], v[vgprGlobalReadOffsetB+25], s[sgprSrdB:sgprSrdB+3], 0, offen offset:0 // G -> Reg 0_0_25_0
v_mfma_f32_16x16x16_f16 a[60+0:63+0], v[vgprValuB_X3_I0+4+0+0:vgprValuB_X3_I0+4+0+0+1], v[vgprValuA_X3_I0+2+0+0:vgprValuA_X3_I0+2+0+0+1], a[60:63]
/*  mfmaIndex:184  */
v_mfma_f32_16x16x16_f16 a[64+0:67+0], v[vgprValuB_X3_I0+4+0+0:vgprValuB_X3_I0+4+0+0+1], v[vgprValuA_X3_I0+4+0+0:vgprValuA_X3_I0+4+0+0+1], a[64:67]
/*  mfmaIndex:185  */
/* sched write - iter 3 writesPerItem=1 */
s_waitcnt vmcnt(0)                                 // lgkmcnt=-1 vmcnt=0wait for global read before writing to local
_ds_store_b32 v[vgprLocalWriteAddrB], v[vgprG2LB+26] offset:28288 // lwoB_0_0_26_0 = (0*LSCB)*(MT1J+PAD) + (26*LSPB) = 28288
v_mfma_f32_16x16x16_f16 a[68+0:71+0], v[vgprValuB_X3_I0+4+0+0:vgprValuB_X3_I0+4+0+0+1], v[vgprValuA_X3_I0+6+0+0:vgprValuA_X3_I0+6+0+0+1], a[68:71]
/*  mfmaIndex:186  */
_buffer_load_b32 v[vgprG2LB+26], v[vgprGlobalReadOffsetB+26], s[sgprSrdB:sgprSrdB+3], 0, offen offset:0 // G -> Reg 0_0_26_0
v_mfma_f32_16x16x16_f16 a[72+0:75+0], v[vgprValuB_X3_I0+4+0+0:vgprValuB_X3_I0+4+0+0+1], v[vgprValuA_X3_I0+8+0+0:vgprValuA_X3_I0+8+0+0+1], a[72:75]
/*  mfmaIndex:187  */
/* sched write - iter 3 writesPerItem=1 */
s_waitcnt vmcnt(0)                                 // lgkmcnt=-1 vmcnt=0wait for global read before writing to local
_ds_store_b32 v[vgprLocalWriteAddrB], v[vgprG2LB+27] offset:29376 // lwoB_0_0_27_0 = (0*LSCB)*(MT1J+PAD) + (27*LSPB) = 29376
v_mfma_f32_16x16x16_f16 a[76+0:79+0], v[vgprValuB_X3_I0+4+0+0:vgprValuB_X3_I0+4+0+0+1], v[vgprValuA_X3_I0+10+0+0:vgprValuA_X3_I0+10+0+0+1], a[76:79]
/*  mfmaIndex:188  */
_buffer_load_b32 v[vgprG2LB+27], v[vgprGlobalReadOffsetB+27], s[sgprSrdB:sgprSrdB+3], 0, offen offset:0 // G -> Reg 0_0_27_0
v_mfma_f32_16x16x16_f16 a[80+0:83+0], v[vgprValuB_X3_I0+4+0+0:vgprValuB_X3_I0+4+0+0+1], v[vgprValuA_X3_I0+12+0+0:vgprValuA_X3_I0+12+0+0+1], a[80:83]
/*  mfmaIndex:189  */
v_mfma_f32_16x16x16_f16 a[108+0:111+0], v[vgprValuB_X3_I0+6+0+0:vgprValuB_X3_I0+6+0+0+1], v[vgprValuA_X3_I0+12+0+0:vgprValuA_X3_I0+12+0+0+1], a[108:111]
/*  mfmaIndex:190  */
/* sched write - iter 3 writesPerItem=1 */
s_waitcnt vmcnt(0)                                 // lgkmcnt=-1 vmcnt=0wait for global read before writing to local
_ds_store_b32 v[vgprLocalWriteAddrB], v[vgprG2LB+28] offset:30464 // lwoB_0_0_28_0 = (0*LSCB)*(MT1J+PAD) + (28*LSPB) = 30464
v_mfma_f32_16x16x16_f16 a[104+0:107+0], v[vgprValuB_X3_I0+6+0+0:vgprValuB_X3_I0+6+0+0+1], v[vgprValuA_X3_I0+10+0+0:vgprValuA_X3_I0+10+0+0+1], a[104:107]
/*  mfmaIndex:191  */
_buffer_load_b32 v[vgprG2LB+28], v[vgprGlobalReadOffsetB+28], s[sgprSrdB:sgprSrdB+3], 0, offen offset:0 // G -> Reg 0_0_28_0
v_mfma_f32_16x16x16_f16 a[100+0:103+0], v[vgprValuB_X3_I0+6+0+0:vgprValuB_X3_I0+6+0+0+1], v[vgprValuA_X3_I0+8+0+0:vgprValuA_X3_I0+8+0+0+1], a[100:103]
/*  mfmaIndex:192  */
/* sched write - iter 3 writesPerItem=1 */
s_waitcnt vmcnt(0)                                 // lgkmcnt=-1 vmcnt=0wait for global read before writing to local
_ds_store_b32 v[vgprLocalWriteAddrB], v[vgprG2LB+29] offset:31552 // lwoB_0_0_29_0 = (0*LSCB)*(MT1J+PAD) + (29*LSPB) = 31552
v_mfma_f32_16x16x16_f16 a[96+0:99+0], v[vgprValuB_X3_I0+6+0+0:vgprValuB_X3_I0+6+0+0+1], v[vgprValuA_X3_I0+6+0+0:vgprValuA_X3_I0+6+0+0+1], a[96:99]
/*  mfmaIndex:193  */
_buffer_load_b32 v[vgprG2LB+29], v[vgprGlobalReadOffsetB+29], s[sgprSrdB:sgprSrdB+3], 0, offen offset:0 // G -> Reg 0_0_29_0
v_mfma_f32_16x16x16_f16 a[92+0:95+0], v[vgprValuB_X3_I0+6+0+0:vgprValuB_X3_I0+6+0+0+1], v[vgprValuA_X3_I0+4+0+0:vgprValuA_X3_I0+4+0+0+1], a[92:95]
/*  mfmaIndex:194  */
v_mfma_f32_16x16x16_f16 a[88+0:91+0], v[vgprValuB_X3_I0+6+0+0:vgprValuB_X3_I0+6+0+0+1], v[vgprValuA_X3_I0+2+0+0:vgprValuA_X3_I0+2+0+0+1], a[88:91]
/*  mfmaIndex:195  */
/* sched write - iter 3 writesPerItem=1 */
s_waitcnt vmcnt(0)                                 // lgkmcnt=-1 vmcnt=0wait for global read before writing to local
_ds_store_b32 v[vgprLocalWriteAddrB], v[vgprG2LB+30] offset:32640 // lwoB_0_0_30_0 = (0*LSCB)*(MT1J+PAD) + (30*LSPB) = 32640
v_mfma_f32_16x16x16_f16 a[84+0:87+0], v[vgprValuB_X3_I0+6+0+0:vgprValuB_X3_I0+6+0+0+1], v[vgprValuA_X3_I0+0+0+0:vgprValuA_X3_I0+0+0+0+1], a[84:87]
/*  mfmaIndex:196  */
_buffer_load_b32 v[vgprG2LB+30], v[vgprGlobalReadOffsetB+30], s[sgprSrdB:sgprSrdB+3], 0, offen offset:0 // G -> Reg 0_0_30_0
v_mfma_f32_16x16x16_f16 a[112+0:115+0], v[vgprValuB_X3_I0+8+0+0:vgprValuB_X3_I0+8+0+0+1], v[vgprValuA_X3_I0+0+0+0:vgprValuA_X3_I0+0+0+0+1], a[112:115]
/*  mfmaIndex:197  */
/* sched write - iter 3 writesPerItem=1 */
s_waitcnt vmcnt(0)                                 // lgkmcnt=-1 vmcnt=0wait for global read before writing to local
_ds_store_b32 v[vgprLocalWriteAddrB], v[vgprG2LB+31] offset:33728 // lwoB_0_0_31_0 = (0*LSCB)*(MT1J+PAD) + (31*LSPB) = 33728
v_mfma_f32_16x16x16_f16 a[116+0:119+0], v[vgprValuB_X3_I0+8+0+0:vgprValuB_X3_I0+8+0+0+1], v[vgprValuA_X3_I0+2+0+0:vgprValuA_X3_I0+2+0+0+1], a[116:119]
/*  mfmaIndex:198  */
_buffer_load_b32 v[vgprG2LB+31], v[vgprGlobalReadOffsetB+31], s[sgprSrdB:sgprSrdB+3], 0, offen offset:0 // G -> Reg 0_0_31_0

/* local write swap offsets a */

/* local write swap offsets b */
v_mfma_f32_16x16x16_f16 a[120+0:123+0], v[vgprValuB_X3_I0+8+0+0:vgprValuB_X3_I0+8+0+0+1], v[vgprValuA_X3_I0+4+0+0:vgprValuA_X3_I0+4+0+0+1], a[120:123]
/*  mfmaIndex:199  */
v_mfma_f32_16x16x16_f16 a[124+0:127+0], v[vgprValuB_X3_I0+8+0+0:vgprValuB_X3_I0+8+0+0+1], v[vgprValuA_X3_I0+6+0+0:vgprValuA_X3_I0+6+0+0+1], a[124:127]
/*  mfmaIndex:200  */
	;; [unrolled: 2-line block ×4, first 2 shown]
v_mfma_f32_16x16x16_f16 a[136+0:139+0], v[vgprValuB_X3_I0+8+0+0:vgprValuB_X3_I0+8+0+0+1], v[vgprValuA_X3_I0+12+0+0:vgprValuA_X3_I0+12+0+0+1], a[136:139]
s_setprio 0                                        // store optimization
/*  mfmaIndex:203  */
s_waitcnt lgkmcnt(0)                               // lgkmcnt=0 vmcnt=-13wait for local write
// Skip force waitcnt0
s_barrier //
v_mfma_f32_16x16x16_f16 a[164+0:167+0], v[vgprValuB_X3_I0+10+0+0:vgprValuB_X3_I0+10+0+0+1], v[vgprValuA_X3_I0+12+0+0:vgprValuA_X3_I0+12+0+0+1], a[164:167]
/*  mfmaIndex:204  */
s_setprio 3                                        // store optimization
_ds_load_b64 v[vgprValuA_X0_I0+0:vgprValuA_X0_I0+0+1], v[vgprLocalReadAddrA] offset:0 // L -> Reg lro=0 swapByteOffset=0 ti=32 vIdx=0 rIdx=0 oIdx=0 buffer=0 iui=0
v_mfma_f32_16x16x16_f16 a[160+0:163+0], v[vgprValuB_X3_I0+10+0+0:vgprValuB_X3_I0+10+0+0+1], v[vgprValuA_X3_I0+10+0+0:vgprValuA_X3_I0+10+0+0+1], a[160:163]
/*  mfmaIndex:205  */
_ds_load_b64 v[vgprValuB_X0_I0+0:vgprValuB_X0_I0+0+1], v[vgprLocalReadAddrB] offset:0 // L -> Reg lro=0 swapByteOffset=0 ti=32 vIdx=0 rIdx=0 oIdx=0 buffer=0 iui=0
v_mfma_f32_16x16x16_f16 a[156+0:159+0], v[vgprValuB_X3_I0+10+0+0:vgprValuB_X3_I0+10+0+0+1], v[vgprValuA_X3_I0+8+0+0:vgprValuA_X3_I0+8+0+0+1], a[156:159]
/*  mfmaIndex:206  */
_ds_load_b64 v[vgprValuA_X0_I0+2:vgprValuA_X0_I0+2+1], v[vgprLocalReadAddrA] offset:4352 // L -> Reg lro=0 swapByteOffset=0 ti=32 vIdx=1 rIdx=0 oIdx=0 buffer=0 iui=0
v_mfma_f32_16x16x16_f16 a[152+0:155+0], v[vgprValuB_X3_I0+10+0+0:vgprValuB_X3_I0+10+0+0+1], v[vgprValuA_X3_I0+6+0+0:vgprValuA_X3_I0+6+0+0+1], a[152:155]
/*  mfmaIndex:207  */
_ds_load_b64 v[vgprValuA_X0_I0+4:vgprValuA_X0_I0+4+1], v[vgprLocalReadAddrA] offset:8704 // L -> Reg lro=0 swapByteOffset=0 ti=32 vIdx=2 rIdx=0 oIdx=0 buffer=0 iui=0
	;; [unrolled: 3-line block ×6, first 2 shown]
v_mfma_f32_16x16x16_f16 a[172+0:175+0], v[vgprValuB_X3_I0+12+0+0:vgprValuB_X3_I0+12+0+0+1], v[vgprValuA_X3_I0+2+0+0:vgprValuA_X3_I0+2+0+0+1], a[172:175]
/*  mfmaIndex:212  */
_ds_load_b64 v[vgprValuB_X0_I0+2:vgprValuB_X0_I0+2+1], v[vgprLocalReadAddrB] offset:4352 // L -> Reg lro=0 swapByteOffset=0 ti=32 vIdx=1 rIdx=0 oIdx=0 buffer=0 iui=0
v_mfma_f32_16x16x16_f16 a[176+0:179+0], v[vgprValuB_X3_I0+12+0+0:vgprValuB_X3_I0+12+0+0+1], v[vgprValuA_X3_I0+4+0+0:vgprValuA_X3_I0+4+0+0+1], a[176:179]
/*  mfmaIndex:213  */
_ds_load_b64 v[vgprValuB_X0_I0+4:vgprValuB_X0_I0+4+1], v[vgprLocalReadAddrB] offset:8704 // L -> Reg lro=0 swapByteOffset=0 ti=32 vIdx=2 rIdx=0 oIdx=0 buffer=0 iui=0
	;; [unrolled: 3-line block ×7, first 2 shown]
v_mfma_f32_16x16x16_f16 a[216+0:219+0], v[vgprValuB_X3_I0+14+0+0:vgprValuB_X3_I0+14+0+0+1], v[vgprValuA_X3_I0+10+0+0:vgprValuA_X3_I0+10+0+0+1], a[216:219]
/*  mfmaIndex:219  */
v_mfma_f32_16x16x16_f16 a[212+0:215+0], v[vgprValuB_X3_I0+14+0+0:vgprValuB_X3_I0+14+0+0+1], v[vgprValuA_X3_I0+8+0+0:vgprValuA_X3_I0+8+0+0+1], a[212:215]
/*  mfmaIndex:220  */
	;; [unrolled: 2-line block ×5, first 2 shown]
v_mfma_f32_16x16x16_f16 a[196+0:199+0], v[vgprValuB_X3_I0+14+0+0:vgprValuB_X3_I0+14+0+0+1], v[vgprValuA_X3_I0+0+0+0:vgprValuA_X3_I0+0+0+0+1], a[196:199]
s_setprio 0                                        // store optimization


/******************************************/
/* Unrolled Loop - End 1/2                */
/******************************************/


/* closeLoop loopL finalLoop=0 tailLoop=0 */
s_sub_u32 s[sgprLoopCounterL], s[sgprLoopCounterL], 1 // dec counterL
s_cmp_eq_i32 s[sgprLoopCounterL], 0x2              // counterL==2
s_cbranch_scc1 LoopEndL_oddexit_3                  // exit LoopL


/******************************************/
/* Unrolled Loop 2/2 - Begin              */
/******************************************/

label_0016: // LoopCopy2 


/* Begin Each Unroll: Check VGPR.checkin for INT8 LW */


	;; [unrolled: 1-line block ×3, first 2 shown]
/* iter 0 */

/*  grEndMfmaIndex:18, lwStartMfmaIndex:52, lwEndMfmaIndex:198  */
/*  numMfmaForLR:20, barrierMfmaIndex:203, LocalWritePerMfma:0.405 */
/*  mfmaIndex:0  */
s_waitcnt lgkmcnt(0)                               // lgkmcnt=0 vmcnt=-1wait for prior local read local write old=0, new=0 newLW=0 newLR=0
v_mfma_f32_16x16x16_f16 a[0+0:3+0], v[vgprValuB_X0_I0+0+0+0:vgprValuB_X0_I0+0+0+0+1], v[vgprValuA_X0_I0+0+0+0:vgprValuA_X0_I0+0+0+0+1], a[0:3]
/*  mfmaIndex:1  */
_ds_load_b64 v[vgprValuA_X1_I0+0:vgprValuA_X1_I0+0+1], v[vgprLocalReadAddrA] offset:32 // L -> Reg lro=16 swapByteOffset=0 ti=32 vIdx=0 rIdx=0 oIdx=0 buffer=1 iui=0

/* global read inc A loopL */
s_cmp_eq_u32 s[sgprLoopCounterL], s[sgprStaggerUIter] // Is this the wrapIter?
v_mfma_f32_16x16x16_f16 a[4+0:7+0], v[vgprValuB_X0_I0+0+0+0:vgprValuB_X0_I0+0+0+0+1], v[vgprValuA_X0_I0+2+0+0:vgprValuA_X0_I0+2+0+0+1], a[4:7]
/*  mfmaIndex:2  */
_ds_load_b64 v[vgprValuB_X1_I0+0:vgprValuB_X1_I0+0+1], v[vgprLocalReadAddrB] offset:32 // L -> Reg lro=16 swapByteOffset=0 ti=32 vIdx=0 rIdx=0 oIdx=0 buffer=1 iui=0
s_cselect_b32 s56, s[sgprWrapUA+0], s[sgprGlobalReadIncsA+0] // incLower <- ?
v_mfma_f32_16x16x16_f16 a[8+0:11+0], v[vgprValuB_X0_I0+0+0+0:vgprValuB_X0_I0+0+0+0+1], v[vgprValuA_X0_I0+4+0+0:vgprValuA_X0_I0+4+0+0+1], a[8:11]
/*  mfmaIndex:3  */
_ds_load_b64 v[vgprValuA_X1_I0+2:vgprValuA_X1_I0+2+1], v[vgprLocalReadAddrA] offset:4384 // L -> Reg lro=16 swapByteOffset=0 ti=32 vIdx=1 rIdx=0 oIdx=0 buffer=1 iui=0
s_cselect_b32 s57, s[sgprWrapUA+1], 0              // incUpper <- ?
v_mfma_f32_16x16x16_f16 a[12+0:15+0], v[vgprValuB_X0_I0+0+0+0:vgprValuB_X0_I0+0+0+0+1], v[vgprValuA_X0_I0+6+0+0:vgprValuA_X0_I0+6+0+0+1], a[12:15]
/*  mfmaIndex:4  */
_ds_load_b64 v[vgprValuA_X1_I0+4:vgprValuA_X1_I0+4+1], v[vgprLocalReadAddrA] offset:8736 // L -> Reg lro=16 swapByteOffset=0 ti=32 vIdx=2 rIdx=0 oIdx=0 buffer=1 iui=0
s_add_u32 s[sgprSrdA+0], s[sgprSrdA+0], s56        // gra SRD += inc(lower)
v_mfma_f32_16x16x16_f16 a[16+0:19+0], v[vgprValuB_X0_I0+0+0+0:vgprValuB_X0_I0+0+0+0+1], v[vgprValuA_X0_I0+8+0+0:vgprValuA_X0_I0+8+0+0+1], a[16:19]
/*  mfmaIndex:5  */
_ds_load_b64 v[vgprValuA_X1_I0+6:vgprValuA_X1_I0+6+1], v[vgprLocalReadAddrA] offset:13088 // L -> Reg lro=16 swapByteOffset=0 ti=32 vIdx=3 rIdx=0 oIdx=0 buffer=1 iui=0
s_addc_u32  s[sgprSrdA+1], s[sgprSrdA+1], s57      // gra SRD += inc(upper)
v_mfma_f32_16x16x16_f16 a[20+0:23+0], v[vgprValuB_X0_I0+0+0+0:vgprValuB_X0_I0+0+0+0+1], v[vgprValuA_X0_I0+10+0+0:vgprValuA_X0_I0+10+0+0+1], a[20:23]
/*  mfmaIndex:6  */
_ds_load_b64 v[vgprValuA_X1_I0+8:vgprValuA_X1_I0+8+1], v[vgprLocalReadAddrA] offset:17440 // L -> Reg lro=16 swapByteOffset=0 ti=32 vIdx=4 rIdx=0 oIdx=0 buffer=1 iui=0
s_sub_u32 s[sgprShadowLimitA+0], s[sgprShadowLimitA+0], s56 // limit -= inc)
v_mfma_f32_16x16x16_f16 a[24+0:27+0], v[vgprValuB_X0_I0+0+0+0:vgprValuB_X0_I0+0+0+0+1], v[vgprValuA_X0_I0+12+0+0:vgprValuA_X0_I0+12+0+0+1], a[24:27]
/*  mfmaIndex:7  */
_ds_load_b64 v[vgprValuA_X1_I0+10:vgprValuA_X1_I0+10+1], v[vgprLocalReadAddrA] offset:21792 // L -> Reg lro=16 swapByteOffset=0 ti=32 vIdx=5 rIdx=0 oIdx=0 buffer=1 iui=0
s_subb_u32 s[sgprShadowLimitA+1], s[sgprShadowLimitA+1], s57 // limit -= inc)
v_mfma_f32_16x16x16_f16 a[52+0:55+0], v[vgprValuB_X0_I0+2+0+0:vgprValuB_X0_I0+2+0+0+1], v[vgprValuA_X0_I0+12+0+0:vgprValuA_X0_I0+12+0+0+1], a[52:55]
/*  mfmaIndex:8  */
_ds_load_b64 v[vgprValuA_X1_I0+12:vgprValuA_X1_I0+12+1], v[vgprLocalReadAddrA] offset:26144 // L -> Reg lro=16 swapByteOffset=0 ti=32 vIdx=6 rIdx=0 oIdx=0 buffer=1 iui=0
s_cmp_eq_u32 s[sgprShadowLimitA+1], 0              // are we within 2^32?
v_mfma_f32_16x16x16_f16 a[48+0:51+0], v[vgprValuB_X0_I0+2+0+0:vgprValuB_X0_I0+2+0+0+1], v[vgprValuA_X0_I0+10+0+0:vgprValuA_X0_I0+10+0+0+1], a[48:51]
/*  mfmaIndex:9  */
_ds_load_b64 v[vgprValuB_X1_I0+2:vgprValuB_X1_I0+2+1], v[vgprLocalReadAddrB] offset:4384 // L -> Reg lro=16 swapByteOffset=0 ti=32 vIdx=1 rIdx=0 oIdx=0 buffer=1 iui=0
s_cselect_b32 s[sgprSrdA+2], s[sgprShadowLimitA+0], BufferLimitA // Move shadow to real if we are within 2^32
v_mfma_f32_16x16x16_f16 a[44+0:47+0], v[vgprValuB_X0_I0+2+0+0:vgprValuB_X0_I0+2+0+0+1], v[vgprValuA_X0_I0+8+0+0:vgprValuA_X0_I0+8+0+0+1], a[44:47]
/*  mfmaIndex:10  */
_ds_load_b64 v[vgprValuB_X1_I0+4:vgprValuB_X1_I0+4+1], v[vgprLocalReadAddrB] offset:8736 // L -> Reg lro=16 swapByteOffset=0 ti=32 vIdx=2 rIdx=0 oIdx=0 buffer=1 iui=0

/* global read inc B loopL */
s_cmp_eq_u32 s[sgprLoopCounterL], s[sgprStaggerUIter] // Is this the wrapIter?
v_mfma_f32_16x16x16_f16 a[40+0:43+0], v[vgprValuB_X0_I0+2+0+0:vgprValuB_X0_I0+2+0+0+1], v[vgprValuA_X0_I0+6+0+0:vgprValuA_X0_I0+6+0+0+1], a[40:43]
/*  mfmaIndex:11  */
_ds_load_b64 v[vgprValuB_X1_I0+6:vgprValuB_X1_I0+6+1], v[vgprLocalReadAddrB] offset:13088 // L -> Reg lro=16 swapByteOffset=0 ti=32 vIdx=3 rIdx=0 oIdx=0 buffer=1 iui=0
s_cselect_b32 s56, s[sgprWrapUB+0], s[sgprGlobalReadIncsB+0] // incLower <- ?
v_mfma_f32_16x16x16_f16 a[36+0:39+0], v[vgprValuB_X0_I0+2+0+0:vgprValuB_X0_I0+2+0+0+1], v[vgprValuA_X0_I0+4+0+0:vgprValuA_X0_I0+4+0+0+1], a[36:39]
/*  mfmaIndex:12  */
_ds_load_b64 v[vgprValuB_X1_I0+8:vgprValuB_X1_I0+8+1], v[vgprLocalReadAddrB] offset:17440 // L -> Reg lro=16 swapByteOffset=0 ti=32 vIdx=4 rIdx=0 oIdx=0 buffer=1 iui=0
s_cselect_b32 s57, s[sgprWrapUB+1], 0              // incUpper <- ?
v_mfma_f32_16x16x16_f16 a[32+0:35+0], v[vgprValuB_X0_I0+2+0+0:vgprValuB_X0_I0+2+0+0+1], v[vgprValuA_X0_I0+2+0+0:vgprValuA_X0_I0+2+0+0+1], a[32:35]
/*  mfmaIndex:13  */
_ds_load_b64 v[vgprValuB_X1_I0+10:vgprValuB_X1_I0+10+1], v[vgprLocalReadAddrB] offset:21792 // L -> Reg lro=16 swapByteOffset=0 ti=32 vIdx=5 rIdx=0 oIdx=0 buffer=1 iui=0
s_add_u32 s[sgprSrdB+0], s[sgprSrdB+0], s56        // gra SRD += inc(lower)
v_mfma_f32_16x16x16_f16 a[28+0:31+0], v[vgprValuB_X0_I0+2+0+0:vgprValuB_X0_I0+2+0+0+1], v[vgprValuA_X0_I0+0+0+0:vgprValuA_X0_I0+0+0+0+1], a[28:31]
/*  mfmaIndex:14  */
_ds_load_b64 v[vgprValuB_X1_I0+12:vgprValuB_X1_I0+12+1], v[vgprLocalReadAddrB] offset:26144 // L -> Reg lro=16 swapByteOffset=0 ti=32 vIdx=6 rIdx=0 oIdx=0 buffer=1 iui=0
s_addc_u32  s[sgprSrdB+1], s[sgprSrdB+1], s57      // gra SRD += inc(upper)
v_mfma_f32_16x16x16_f16 a[56+0:59+0], v[vgprValuB_X0_I0+4+0+0:vgprValuB_X0_I0+4+0+0+1], v[vgprValuA_X0_I0+0+0+0:vgprValuA_X0_I0+0+0+0+1], a[56:59]
/*  mfmaIndex:15  */
_ds_load_b64 v[vgprValuB_X1_I0+14:vgprValuB_X1_I0+14+1], v[vgprLocalReadAddrB] offset:30496 // L -> Reg lro=16 swapByteOffset=0 ti=32 vIdx=7 rIdx=0 oIdx=0 buffer=1 iui=0
s_sub_u32 s[sgprShadowLimitB+0], s[sgprShadowLimitB+0], s56 // limit -= inc)
v_mfma_f32_16x16x16_f16 a[60+0:63+0], v[vgprValuB_X0_I0+4+0+0:vgprValuB_X0_I0+4+0+0+1], v[vgprValuA_X0_I0+2+0+0:vgprValuA_X0_I0+2+0+0+1], a[60:63]
/*  mfmaIndex:16  */
/* localReadsVacancy: latencyLeft 2 */
_ds_load_b64 v[vgprValuA_X2_I0+0:vgprValuA_X2_I0+0+1], v[vgprLocalReadAddrA] offset:64 // L -> Reg lro=32 swapByteOffset=0 ti=32 vIdx=0 rIdx=0 oIdx=0 buffer=2 iui=0
s_subb_u32 s[sgprShadowLimitB+1], s[sgprShadowLimitB+1], s57 // limit -= inc)
v_mfma_f32_16x16x16_f16 a[64+0:67+0], v[vgprValuB_X0_I0+4+0+0:vgprValuB_X0_I0+4+0+0+1], v[vgprValuA_X0_I0+4+0+0:vgprValuA_X0_I0+4+0+0+1], a[64:67]
/*  mfmaIndex:17  */
/* localReadsVacancy: latencyLeft 2 */
_ds_load_b64 v[vgprValuB_X2_I0+0:vgprValuB_X2_I0+0+1], v[vgprLocalReadAddrB] offset:64 // L -> Reg lro=32 swapByteOffset=0 ti=32 vIdx=0 rIdx=0 oIdx=0 buffer=2 iui=0
s_cmp_eq_u32 s[sgprShadowLimitB+1], 0              // are we within 2^32?
v_mfma_f32_16x16x16_f16 a[68+0:71+0], v[vgprValuB_X0_I0+4+0+0:vgprValuB_X0_I0+4+0+0+1], v[vgprValuA_X0_I0+6+0+0:vgprValuA_X0_I0+6+0+0+1], a[68:71]
/*  mfmaIndex:18  */
/* localReadsVacancy: latencyLeft 2 */
_ds_load_b64 v[vgprValuA_X2_I0+2:vgprValuA_X2_I0+2+1], v[vgprLocalReadAddrA] offset:4416 // L -> Reg lro=32 swapByteOffset=0 ti=32 vIdx=1 rIdx=0 oIdx=0 buffer=2 iui=0
s_cselect_b32 s[sgprSrdB+2], s[sgprShadowLimitB+0], BufferLimitB // Move shadow to real if we are within 2^32
v_mfma_f32_16x16x16_f16 a[72+0:75+0], v[vgprValuB_X0_I0+4+0+0:vgprValuB_X0_I0+4+0+0+1], v[vgprValuA_X0_I0+8+0+0:vgprValuA_X0_I0+8+0+0+1], a[72:75]
/*  mfmaIndex:19  */
/* localReadsVacancy: latencyLeft 2 */
_ds_load_b64 v[vgprValuA_X2_I0+4:vgprValuA_X2_I0+4+1], v[vgprLocalReadAddrA] offset:8768 // L -> Reg lro=32 swapByteOffset=0 ti=32 vIdx=2 rIdx=0 oIdx=0 buffer=2 iui=0
v_mfma_f32_16x16x16_f16 a[76+0:79+0], v[vgprValuB_X0_I0+4+0+0:vgprValuB_X0_I0+4+0+0+1], v[vgprValuA_X0_I0+10+0+0:vgprValuA_X0_I0+10+0+0+1], a[76:79]
/*  mfmaIndex:20  */
/* localReadsVacancy: latencyLeft 2 */
_ds_load_b64 v[vgprValuA_X2_I0+6:vgprValuA_X2_I0+6+1], v[vgprLocalReadAddrA] offset:13120 // L -> Reg lro=32 swapByteOffset=0 ti=32 vIdx=3 rIdx=0 oIdx=0 buffer=2 iui=0
	;; [unrolled: 4-line block ×5, first 2 shown]
v_mfma_f32_16x16x16_f16 a[100+0:103+0], v[vgprValuB_X0_I0+6+0+0:vgprValuB_X0_I0+6+0+0+1], v[vgprValuA_X0_I0+8+0+0:vgprValuA_X0_I0+8+0+0+1], a[100:103]
/*  mfmaIndex:24  */
/* localReadsVacancy: latencyLeft 2 */
_ds_load_b64 v[vgprValuB_X2_I0+2:vgprValuB_X2_I0+2+1], v[vgprLocalReadAddrB] offset:4416 // L -> Reg lro=32 swapByteOffset=0 ti=32 vIdx=1 rIdx=0 oIdx=0 buffer=2 iui=0
v_mfma_f32_16x16x16_f16 a[96+0:99+0], v[vgprValuB_X0_I0+6+0+0:vgprValuB_X0_I0+6+0+0+1], v[vgprValuA_X0_I0+6+0+0:vgprValuA_X0_I0+6+0+0+1], a[96:99]
/*  mfmaIndex:25  */
/* localReadsVacancy: latencyLeft 2 */
_ds_load_b64 v[vgprValuB_X2_I0+4:vgprValuB_X2_I0+4+1], v[vgprLocalReadAddrB] offset:8768 // L -> Reg lro=32 swapByteOffset=0 ti=32 vIdx=2 rIdx=0 oIdx=0 buffer=2 iui=0
v_mfma_f32_16x16x16_f16 a[92+0:95+0], v[vgprValuB_X0_I0+6+0+0:vgprValuB_X0_I0+6+0+0+1], v[vgprValuA_X0_I0+4+0+0:vgprValuA_X0_I0+4+0+0+1], a[92:95]
/*  mfmaIndex:26  */
/* localReadsVacancy: latencyLeft 2 */
_ds_load_b64 v[vgprValuB_X2_I0+6:vgprValuB_X2_I0+6+1], v[vgprLocalReadAddrB] offset:13120 // L -> Reg lro=32 swapByteOffset=0 ti=32 vIdx=3 rIdx=0 oIdx=0 buffer=2 iui=0
v_mfma_f32_16x16x16_f16 a[88+0:91+0], v[vgprValuB_X0_I0+6+0+0:vgprValuB_X0_I0+6+0+0+1], v[vgprValuA_X0_I0+2+0+0:vgprValuA_X0_I0+2+0+0+1], a[88:91]
/*  mfmaIndex:27  */
/* localReadsVacancy: latencyLeft 2 */
_ds_load_b64 v[vgprValuB_X2_I0+8:vgprValuB_X2_I0+8+1], v[vgprLocalReadAddrB] offset:17472 // L -> Reg lro=32 swapByteOffset=0 ti=32 vIdx=4 rIdx=0 oIdx=0 buffer=2 iui=0
v_mfma_f32_16x16x16_f16 a[84+0:87+0], v[vgprValuB_X0_I0+6+0+0:vgprValuB_X0_I0+6+0+0+1], v[vgprValuA_X0_I0+0+0+0:vgprValuA_X0_I0+0+0+0+1], a[84:87]
/*  mfmaIndex:28  */
/* localReadsVacancy: latencyLeft 2 */
_ds_load_b64 v[vgprValuB_X2_I0+10:vgprValuB_X2_I0+10+1], v[vgprLocalReadAddrB] offset:21824 // L -> Reg lro=32 swapByteOffset=0 ti=32 vIdx=5 rIdx=0 oIdx=0 buffer=2 iui=0
v_mfma_f32_16x16x16_f16 a[112+0:115+0], v[vgprValuB_X0_I0+8+0+0:vgprValuB_X0_I0+8+0+0+1], v[vgprValuA_X0_I0+0+0+0:vgprValuA_X0_I0+0+0+0+1], a[112:115]
/*  mfmaIndex:29  */
/* localReadsVacancy: latencyLeft 2 */
_ds_load_b64 v[vgprValuB_X2_I0+12:vgprValuB_X2_I0+12+1], v[vgprLocalReadAddrB] offset:26176 // L -> Reg lro=32 swapByteOffset=0 ti=32 vIdx=6 rIdx=0 oIdx=0 buffer=2 iui=0
v_mfma_f32_16x16x16_f16 a[116+0:119+0], v[vgprValuB_X0_I0+8+0+0:vgprValuB_X0_I0+8+0+0+1], v[vgprValuA_X0_I0+2+0+0:vgprValuA_X0_I0+2+0+0+1], a[116:119]
/*  mfmaIndex:30  */
/* localReadsVacancy: latencyLeft 2 */
_ds_load_b64 v[vgprValuB_X2_I0+14:vgprValuB_X2_I0+14+1], v[vgprLocalReadAddrB] offset:30528 // L -> Reg lro=32 swapByteOffset=0 ti=32 vIdx=7 rIdx=0 oIdx=0 buffer=2 iui=0
v_mfma_f32_16x16x16_f16 a[120+0:123+0], v[vgprValuB_X0_I0+8+0+0:vgprValuB_X0_I0+8+0+0+1], v[vgprValuA_X0_I0+4+0+0:vgprValuA_X0_I0+4+0+0+1], a[120:123]
/*  mfmaIndex:31  */
/* localReadsVacancy: latencyLeft 2 */
_ds_load_b64 v[vgprValuA_X3_I0+0:vgprValuA_X3_I0+0+1], v[vgprLocalReadAddrA] offset:96 // L -> Reg lro=48 swapByteOffset=0 ti=32 vIdx=0 rIdx=0 oIdx=0 buffer=3 iui=0
v_mfma_f32_16x16x16_f16 a[124+0:127+0], v[vgprValuB_X0_I0+8+0+0:vgprValuB_X0_I0+8+0+0+1], v[vgprValuA_X0_I0+6+0+0:vgprValuA_X0_I0+6+0+0+1], a[124:127]
/*  mfmaIndex:32  */
/* localReadsVacancy: latencyLeft 2 */
_ds_load_b64 v[vgprValuB_X3_I0+0:vgprValuB_X3_I0+0+1], v[vgprLocalReadAddrB] offset:96 // L -> Reg lro=48 swapByteOffset=0 ti=32 vIdx=0 rIdx=0 oIdx=0 buffer=3 iui=0
v_mfma_f32_16x16x16_f16 a[128+0:131+0], v[vgprValuB_X0_I0+8+0+0:vgprValuB_X0_I0+8+0+0+1], v[vgprValuA_X0_I0+8+0+0:vgprValuA_X0_I0+8+0+0+1], a[128:131]
/*  mfmaIndex:33  */
/* localReadsVacancy: latencyLeft 2 */
_ds_load_b64 v[vgprValuA_X3_I0+2:vgprValuA_X3_I0+2+1], v[vgprLocalReadAddrA] offset:4448 // L -> Reg lro=48 swapByteOffset=0 ti=32 vIdx=1 rIdx=0 oIdx=0 buffer=3 iui=0
v_mfma_f32_16x16x16_f16 a[132+0:135+0], v[vgprValuB_X0_I0+8+0+0:vgprValuB_X0_I0+8+0+0+1], v[vgprValuA_X0_I0+10+0+0:vgprValuA_X0_I0+10+0+0+1], a[132:135]
/*  mfmaIndex:34  */
/* localReadsVacancy: latencyLeft 2 */
_ds_load_b64 v[vgprValuA_X3_I0+4:vgprValuA_X3_I0+4+1], v[vgprLocalReadAddrA] offset:8800 // L -> Reg lro=48 swapByteOffset=0 ti=32 vIdx=2 rIdx=0 oIdx=0 buffer=3 iui=0
	;; [unrolled: 4-line block ×6, first 2 shown]
v_mfma_f32_16x16x16_f16 a[152+0:155+0], v[vgprValuB_X0_I0+10+0+0:vgprValuB_X0_I0+10+0+0+1], v[vgprValuA_X0_I0+6+0+0:vgprValuA_X0_I0+6+0+0+1], a[152:155]
/*  mfmaIndex:39  */
/* localReadsVacancy: latencyLeft 2 */
_ds_load_b64 v[vgprValuB_X3_I0+2:vgprValuB_X3_I0+2+1], v[vgprLocalReadAddrB] offset:4448 // L -> Reg lro=48 swapByteOffset=0 ti=32 vIdx=1 rIdx=0 oIdx=0 buffer=3 iui=0
v_mfma_f32_16x16x16_f16 a[148+0:151+0], v[vgprValuB_X0_I0+10+0+0:vgprValuB_X0_I0+10+0+0+1], v[vgprValuA_X0_I0+4+0+0:vgprValuA_X0_I0+4+0+0+1], a[148:151]
/*  mfmaIndex:40  */
/* localReadsVacancy: latencyLeft 2 */
_ds_load_b64 v[vgprValuB_X3_I0+4:vgprValuB_X3_I0+4+1], v[vgprLocalReadAddrB] offset:8800 // L -> Reg lro=48 swapByteOffset=0 ti=32 vIdx=2 rIdx=0 oIdx=0 buffer=3 iui=0
v_mfma_f32_16x16x16_f16 a[144+0:147+0], v[vgprValuB_X0_I0+10+0+0:vgprValuB_X0_I0+10+0+0+1], v[vgprValuA_X0_I0+2+0+0:vgprValuA_X0_I0+2+0+0+1], a[144:147]
/*  mfmaIndex:41  */
/* localReadsVacancy: latencyLeft 2 */
_ds_load_b64 v[vgprValuB_X3_I0+6:vgprValuB_X3_I0+6+1], v[vgprLocalReadAddrB] offset:13152 // L -> Reg lro=48 swapByteOffset=0 ti=32 vIdx=3 rIdx=0 oIdx=0 buffer=3 iui=0
v_mfma_f32_16x16x16_f16 a[140+0:143+0], v[vgprValuB_X0_I0+10+0+0:vgprValuB_X0_I0+10+0+0+1], v[vgprValuA_X0_I0+0+0+0:vgprValuA_X0_I0+0+0+0+1], a[140:143]
/*  mfmaIndex:42  */
/* localReadsVacancy: latencyLeft 2 */
_ds_load_b64 v[vgprValuB_X3_I0+8:vgprValuB_X3_I0+8+1], v[vgprLocalReadAddrB] offset:17504 // L -> Reg lro=48 swapByteOffset=0 ti=32 vIdx=4 rIdx=0 oIdx=0 buffer=3 iui=0
v_mfma_f32_16x16x16_f16 a[168+0:171+0], v[vgprValuB_X0_I0+12+0+0:vgprValuB_X0_I0+12+0+0+1], v[vgprValuA_X0_I0+0+0+0:vgprValuA_X0_I0+0+0+0+1], a[168:171]
/*  mfmaIndex:43  */
/* localReadsVacancy: latencyLeft 2 */
_ds_load_b64 v[vgprValuB_X3_I0+10:vgprValuB_X3_I0+10+1], v[vgprLocalReadAddrB] offset:21856 // L -> Reg lro=48 swapByteOffset=0 ti=32 vIdx=5 rIdx=0 oIdx=0 buffer=3 iui=0
v_mfma_f32_16x16x16_f16 a[172+0:175+0], v[vgprValuB_X0_I0+12+0+0:vgprValuB_X0_I0+12+0+0+1], v[vgprValuA_X0_I0+2+0+0:vgprValuA_X0_I0+2+0+0+1], a[172:175]
/*  mfmaIndex:44  */
/* localReadsVacancy: latencyLeft 2 */
_ds_load_b64 v[vgprValuB_X3_I0+12:vgprValuB_X3_I0+12+1], v[vgprLocalReadAddrB] offset:26208 // L -> Reg lro=48 swapByteOffset=0 ti=32 vIdx=6 rIdx=0 oIdx=0 buffer=3 iui=0
v_mfma_f32_16x16x16_f16 a[176+0:179+0], v[vgprValuB_X0_I0+12+0+0:vgprValuB_X0_I0+12+0+0+1], v[vgprValuA_X0_I0+4+0+0:vgprValuA_X0_I0+4+0+0+1], a[176:179]
/*  mfmaIndex:45  */
/* localReadsVacancy: latencyLeft 2 */
_ds_load_b64 v[vgprValuB_X3_I0+14:vgprValuB_X3_I0+14+1], v[vgprLocalReadAddrB] offset:30560 // L -> Reg lro=48 swapByteOffset=0 ti=32 vIdx=7 rIdx=0 oIdx=0 buffer=3 iui=0
v_mfma_f32_16x16x16_f16 a[180+0:183+0], v[vgprValuB_X0_I0+12+0+0:vgprValuB_X0_I0+12+0+0+1], v[vgprValuA_X0_I0+6+0+0:vgprValuA_X0_I0+6+0+0+1], a[180:183]
/*  mfmaIndex:46  */
/* localReadsVacancy: latencyLeft 2 */
v_mfma_f32_16x16x16_f16 a[184+0:187+0], v[vgprValuB_X0_I0+12+0+0:vgprValuB_X0_I0+12+0+0+1], v[vgprValuA_X0_I0+8+0+0:vgprValuA_X0_I0+8+0+0+1], a[184:187]
/*  mfmaIndex:47  */
/* localReadsVacancy: latencyLeft 2 */
	;; [unrolled: 3-line block ×6, first 2 shown]
/* 1 LDS buffer: read-sync-write */
s_waitcnt lgkmcnt(0)                               // 
s_barrier                                          // 
v_mfma_f32_16x16x16_f16 a[212+0:215+0], v[vgprValuB_X0_I0+14+0+0:vgprValuB_X0_I0+14+0+0+1], v[vgprValuA_X0_I0+8+0+0:vgprValuA_X0_I0+8+0+0+1], a[212:215]
/*  mfmaIndex:52  */
s_setprio 3                                        // store optimization
/* sched write - iter 0 writesPerItem=1 */
s_waitcnt vmcnt(0)                                 // lgkmcnt=-1 vmcnt=0wait for global read before writing to local
_ds_store_b32 v[vgprLocalWriteAddrA], v[vgprG2LA+0] offset:0 // lwoA_0_0_0_0 = (0*LSCA)*(MT0I+PAD) + (0*LSPA) = 0
v_mfma_f32_16x16x16_f16 a[208+0:211+0], v[vgprValuB_X0_I0+14+0+0:vgprValuB_X0_I0+14+0+0+1], v[vgprValuA_X0_I0+6+0+0:vgprValuA_X0_I0+6+0+0+1], a[208:211]
/*  mfmaIndex:53  */
_buffer_load_b32 v[vgprG2LA+0], v[vgprGlobalReadOffsetA+0], s[sgprSrdA:sgprSrdA+3], 0, offen offset:0 // G -> Reg 0_0_0_0
v_mfma_f32_16x16x16_f16 a[204+0:207+0], v[vgprValuB_X0_I0+14+0+0:vgprValuB_X0_I0+14+0+0+1], v[vgprValuA_X0_I0+4+0+0:vgprValuA_X0_I0+4+0+0+1], a[204:207]
/*  mfmaIndex:54  */
/* sched write - iter 0 writesPerItem=1 */
s_waitcnt vmcnt(0)                                 // lgkmcnt=-1 vmcnt=0wait for global read before writing to local
_ds_store_b32 v[vgprLocalWriteAddrA], v[vgprG2LA+1] offset:1088 // lwoA_0_0_1_0 = (0*LSCA)*(MT0I+PAD) + (1*LSPA) = 1088
v_mfma_f32_16x16x16_f16 a[200+0:203+0], v[vgprValuB_X0_I0+14+0+0:vgprValuB_X0_I0+14+0+0+1], v[vgprValuA_X0_I0+2+0+0:vgprValuA_X0_I0+2+0+0+1], a[200:203]
/*  mfmaIndex:55  */
_buffer_load_b32 v[vgprG2LA+1], v[vgprGlobalReadOffsetA+1], s[sgprSrdA:sgprSrdA+3], 0, offen offset:0 // G -> Reg 0_0_1_0
v_mfma_f32_16x16x16_f16 a[196+0:199+0], v[vgprValuB_X0_I0+14+0+0:vgprValuB_X0_I0+14+0+0+1], v[vgprValuA_X0_I0+0+0+0:vgprValuA_X0_I0+0+0+0+1], a[196:199]
/* numPrefetchIter=0 */
/* dataAtIterA=-1 numReadsIterA=1 skipReadsIterA=1 readsPerIterA=7 */
/* dataAtIterB=-1 numReadsIterB=1 skipReadsIterB=1 readsPerIterB=8 */


/* iter 1 */

/*  grEndMfmaIndex:18, lwStartMfmaIndex:52, lwEndMfmaIndex:198  */
/*  numMfmaForLR:20, barrierMfmaIndex:203, LocalWritePerMfma:0.405 */
/*  mfmaIndex:56  */
/* sched write - iter 1 writesPerItem=1 */
s_waitcnt vmcnt(0)                                 // lgkmcnt=-1 vmcnt=0wait for global read before writing to local
_ds_store_b32 v[vgprLocalWriteAddrA], v[vgprG2LA+2] offset:2176 // lwoA_0_0_2_0 = (0*LSCA)*(MT0I+PAD) + (2*LSPA) = 2176
v_mfma_f32_16x16x16_f16 a[0+0:3+0], v[vgprValuB_X1_I0+0+0+0:vgprValuB_X1_I0+0+0+0+1], v[vgprValuA_X1_I0+0+0+0:vgprValuA_X1_I0+0+0+0+1], a[0:3]
/*  mfmaIndex:57  */
_buffer_load_b32 v[vgprG2LA+2], v[vgprGlobalReadOffsetA+2], s[sgprSrdA:sgprSrdA+3], 0, offen offset:0 // G -> Reg 0_0_2_0
v_mfma_f32_16x16x16_f16 a[4+0:7+0], v[vgprValuB_X1_I0+0+0+0:vgprValuB_X1_I0+0+0+0+1], v[vgprValuA_X1_I0+2+0+0:vgprValuA_X1_I0+2+0+0+1], a[4:7]
/*  mfmaIndex:58  */
v_mfma_f32_16x16x16_f16 a[8+0:11+0], v[vgprValuB_X1_I0+0+0+0:vgprValuB_X1_I0+0+0+0+1], v[vgprValuA_X1_I0+4+0+0:vgprValuA_X1_I0+4+0+0+1], a[8:11]
/*  mfmaIndex:59  */
/* sched write - iter 1 writesPerItem=1 */
s_waitcnt vmcnt(0)                                 // lgkmcnt=-1 vmcnt=0wait for global read before writing to local
_ds_store_b32 v[vgprLocalWriteAddrA], v[vgprG2LA+3] offset:3264 // lwoA_0_0_3_0 = (0*LSCA)*(MT0I+PAD) + (3*LSPA) = 3264
v_mfma_f32_16x16x16_f16 a[12+0:15+0], v[vgprValuB_X1_I0+0+0+0:vgprValuB_X1_I0+0+0+0+1], v[vgprValuA_X1_I0+6+0+0:vgprValuA_X1_I0+6+0+0+1], a[12:15]
/*  mfmaIndex:60  */
_buffer_load_b32 v[vgprG2LA+3], v[vgprGlobalReadOffsetA+3], s[sgprSrdA:sgprSrdA+3], 0, offen offset:0 // G -> Reg 0_0_3_0
v_mfma_f32_16x16x16_f16 a[16+0:19+0], v[vgprValuB_X1_I0+0+0+0:vgprValuB_X1_I0+0+0+0+1], v[vgprValuA_X1_I0+8+0+0:vgprValuA_X1_I0+8+0+0+1], a[16:19]
/*  mfmaIndex:61  */
/* sched write - iter 1 writesPerItem=1 */
s_waitcnt vmcnt(0)                                 // lgkmcnt=-1 vmcnt=0wait for global read before writing to local
_ds_store_b32 v[vgprLocalWriteAddrA], v[vgprG2LA+4] offset:4352 // lwoA_0_0_4_0 = (0*LSCA)*(MT0I+PAD) + (4*LSPA) = 4352
v_mfma_f32_16x16x16_f16 a[20+0:23+0], v[vgprValuB_X1_I0+0+0+0:vgprValuB_X1_I0+0+0+0+1], v[vgprValuA_X1_I0+10+0+0:vgprValuA_X1_I0+10+0+0+1], a[20:23]
/*  mfmaIndex:62  */
_buffer_load_b32 v[vgprG2LA+4], v[vgprGlobalReadOffsetA+4], s[sgprSrdA:sgprSrdA+3], 0, offen offset:0 // G -> Reg 0_0_4_0
v_mfma_f32_16x16x16_f16 a[24+0:27+0], v[vgprValuB_X1_I0+0+0+0:vgprValuB_X1_I0+0+0+0+1], v[vgprValuA_X1_I0+12+0+0:vgprValuA_X1_I0+12+0+0+1], a[24:27]
/*  mfmaIndex:63  */
v_mfma_f32_16x16x16_f16 a[52+0:55+0], v[vgprValuB_X1_I0+2+0+0:vgprValuB_X1_I0+2+0+0+1], v[vgprValuA_X1_I0+12+0+0:vgprValuA_X1_I0+12+0+0+1], a[52:55]
/*  mfmaIndex:64  */
/* sched write - iter 1 writesPerItem=1 */
s_waitcnt vmcnt(0)                                 // lgkmcnt=-1 vmcnt=0wait for global read before writing to local
_ds_store_b32 v[vgprLocalWriteAddrA], v[vgprG2LA+5] offset:5440 // lwoA_0_0_5_0 = (0*LSCA)*(MT0I+PAD) + (5*LSPA) = 5440
v_mfma_f32_16x16x16_f16 a[48+0:51+0], v[vgprValuB_X1_I0+2+0+0:vgprValuB_X1_I0+2+0+0+1], v[vgprValuA_X1_I0+10+0+0:vgprValuA_X1_I0+10+0+0+1], a[48:51]
/*  mfmaIndex:65  */
_buffer_load_b32 v[vgprG2LA+5], v[vgprGlobalReadOffsetA+5], s[sgprSrdA:sgprSrdA+3], 0, offen offset:0 // G -> Reg 0_0_5_0
v_mfma_f32_16x16x16_f16 a[44+0:47+0], v[vgprValuB_X1_I0+2+0+0:vgprValuB_X1_I0+2+0+0+1], v[vgprValuA_X1_I0+8+0+0:vgprValuA_X1_I0+8+0+0+1], a[44:47]
/*  mfmaIndex:66  */
/* sched write - iter 1 writesPerItem=1 */
s_waitcnt vmcnt(0)                                 // lgkmcnt=-1 vmcnt=0wait for global read before writing to local
_ds_store_b32 v[vgprLocalWriteAddrA], v[vgprG2LA+6] offset:6528 // lwoA_0_0_6_0 = (0*LSCA)*(MT0I+PAD) + (6*LSPA) = 6528
v_mfma_f32_16x16x16_f16 a[40+0:43+0], v[vgprValuB_X1_I0+2+0+0:vgprValuB_X1_I0+2+0+0+1], v[vgprValuA_X1_I0+6+0+0:vgprValuA_X1_I0+6+0+0+1], a[40:43]
/*  mfmaIndex:67  */
_buffer_load_b32 v[vgprG2LA+6], v[vgprGlobalReadOffsetA+6], s[sgprSrdA:sgprSrdA+3], 0, offen offset:0 // G -> Reg 0_0_6_0
v_mfma_f32_16x16x16_f16 a[36+0:39+0], v[vgprValuB_X1_I0+2+0+0:vgprValuB_X1_I0+2+0+0+1], v[vgprValuA_X1_I0+4+0+0:vgprValuA_X1_I0+4+0+0+1], a[36:39]
/*  mfmaIndex:68  */
v_mfma_f32_16x16x16_f16 a[32+0:35+0], v[vgprValuB_X1_I0+2+0+0:vgprValuB_X1_I0+2+0+0+1], v[vgprValuA_X1_I0+2+0+0:vgprValuA_X1_I0+2+0+0+1], a[32:35]
/*  mfmaIndex:69  */
/* sched write - iter 1 writesPerItem=1 */
s_waitcnt vmcnt(0)                                 // lgkmcnt=-1 vmcnt=0wait for global read before writing to local
_ds_store_b32 v[vgprLocalWriteAddrA], v[vgprG2LA+7] offset:7616 // lwoA_0_0_7_0 = (0*LSCA)*(MT0I+PAD) + (7*LSPA) = 7616
v_mfma_f32_16x16x16_f16 a[28+0:31+0], v[vgprValuB_X1_I0+2+0+0:vgprValuB_X1_I0+2+0+0+1], v[vgprValuA_X1_I0+0+0+0:vgprValuA_X1_I0+0+0+0+1], a[28:31]
/*  mfmaIndex:70  */
_buffer_load_b32 v[vgprG2LA+7], v[vgprGlobalReadOffsetA+7], s[sgprSrdA:sgprSrdA+3], 0, offen offset:0 // G -> Reg 0_0_7_0
v_mfma_f32_16x16x16_f16 a[56+0:59+0], v[vgprValuB_X1_I0+4+0+0:vgprValuB_X1_I0+4+0+0+1], v[vgprValuA_X1_I0+0+0+0:vgprValuA_X1_I0+0+0+0+1], a[56:59]
/*  mfmaIndex:71  */
/* sched write - iter 1 writesPerItem=1 */
s_waitcnt vmcnt(0)                                 // lgkmcnt=-1 vmcnt=0wait for global read before writing to local
_ds_store_b32 v[vgprLocalWriteAddrA], v[vgprG2LA+8] offset:8704 // lwoA_0_0_8_0 = (0*LSCA)*(MT0I+PAD) + (8*LSPA) = 8704
v_mfma_f32_16x16x16_f16 a[60+0:63+0], v[vgprValuB_X1_I0+4+0+0:vgprValuB_X1_I0+4+0+0+1], v[vgprValuA_X1_I0+2+0+0:vgprValuA_X1_I0+2+0+0+1], a[60:63]
/*  mfmaIndex:72  */
_buffer_load_b32 v[vgprG2LA+8], v[vgprGlobalReadOffsetA+8], s[sgprSrdA:sgprSrdA+3], 0, offen offset:0 // G -> Reg 0_0_8_0
v_mfma_f32_16x16x16_f16 a[64+0:67+0], v[vgprValuB_X1_I0+4+0+0:vgprValuB_X1_I0+4+0+0+1], v[vgprValuA_X1_I0+4+0+0:vgprValuA_X1_I0+4+0+0+1], a[64:67]
/*  mfmaIndex:73  */
v_mfma_f32_16x16x16_f16 a[68+0:71+0], v[vgprValuB_X1_I0+4+0+0:vgprValuB_X1_I0+4+0+0+1], v[vgprValuA_X1_I0+6+0+0:vgprValuA_X1_I0+6+0+0+1], a[68:71]
/*  mfmaIndex:74  */
/* sched write - iter 1 writesPerItem=1 */
s_waitcnt vmcnt(0)                                 // lgkmcnt=-1 vmcnt=0wait for global read before writing to local
_ds_store_b32 v[vgprLocalWriteAddrA], v[vgprG2LA+9] offset:9792 // lwoA_0_0_9_0 = (0*LSCA)*(MT0I+PAD) + (9*LSPA) = 9792
v_mfma_f32_16x16x16_f16 a[72+0:75+0], v[vgprValuB_X1_I0+4+0+0:vgprValuB_X1_I0+4+0+0+1], v[vgprValuA_X1_I0+8+0+0:vgprValuA_X1_I0+8+0+0+1], a[72:75]
/*  mfmaIndex:75  */
_buffer_load_b32 v[vgprG2LA+9], v[vgprGlobalReadOffsetA+9], s[sgprSrdA:sgprSrdA+3], 0, offen offset:0 // G -> Reg 0_0_9_0
v_mfma_f32_16x16x16_f16 a[76+0:79+0], v[vgprValuB_X1_I0+4+0+0:vgprValuB_X1_I0+4+0+0+1], v[vgprValuA_X1_I0+10+0+0:vgprValuA_X1_I0+10+0+0+1], a[76:79]
/*  mfmaIndex:76  */
/* sched write - iter 1 writesPerItem=1 */
s_waitcnt vmcnt(0)                                 // lgkmcnt=-1 vmcnt=0wait for global read before writing to local
_ds_store_b32 v[vgprLocalWriteAddrA], v[vgprG2LA+10] offset:10880 // lwoA_0_0_10_0 = (0*LSCA)*(MT0I+PAD) + (10*LSPA) = 10880
v_mfma_f32_16x16x16_f16 a[80+0:83+0], v[vgprValuB_X1_I0+4+0+0:vgprValuB_X1_I0+4+0+0+1], v[vgprValuA_X1_I0+12+0+0:vgprValuA_X1_I0+12+0+0+1], a[80:83]
/*  mfmaIndex:77  */
_buffer_load_b32 v[vgprG2LA+10], v[vgprGlobalReadOffsetA+10], s[sgprSrdA:sgprSrdA+3], 0, offen offset:0 // G -> Reg 0_0_10_0
v_mfma_f32_16x16x16_f16 a[108+0:111+0], v[vgprValuB_X1_I0+6+0+0:vgprValuB_X1_I0+6+0+0+1], v[vgprValuA_X1_I0+12+0+0:vgprValuA_X1_I0+12+0+0+1], a[108:111]
/*  mfmaIndex:78  */
v_mfma_f32_16x16x16_f16 a[104+0:107+0], v[vgprValuB_X1_I0+6+0+0:vgprValuB_X1_I0+6+0+0+1], v[vgprValuA_X1_I0+10+0+0:vgprValuA_X1_I0+10+0+0+1], a[104:107]
/*  mfmaIndex:79  */
/* sched write - iter 1 writesPerItem=1 */
s_waitcnt vmcnt(0)                                 // lgkmcnt=-1 vmcnt=0wait for global read before writing to local
_ds_store_b32 v[vgprLocalWriteAddrA], v[vgprG2LA+11] offset:11968 // lwoA_0_0_11_0 = (0*LSCA)*(MT0I+PAD) + (11*LSPA) = 11968
v_mfma_f32_16x16x16_f16 a[100+0:103+0], v[vgprValuB_X1_I0+6+0+0:vgprValuB_X1_I0+6+0+0+1], v[vgprValuA_X1_I0+8+0+0:vgprValuA_X1_I0+8+0+0+1], a[100:103]
/*  mfmaIndex:80  */
_buffer_load_b32 v[vgprG2LA+11], v[vgprGlobalReadOffsetA+11], s[sgprSrdA:sgprSrdA+3], 0, offen offset:0 // G -> Reg 0_0_11_0
v_mfma_f32_16x16x16_f16 a[96+0:99+0], v[vgprValuB_X1_I0+6+0+0:vgprValuB_X1_I0+6+0+0+1], v[vgprValuA_X1_I0+6+0+0:vgprValuA_X1_I0+6+0+0+1], a[96:99]
/*  mfmaIndex:81  */
/* sched write - iter 1 writesPerItem=1 */
s_waitcnt vmcnt(0)                                 // lgkmcnt=-1 vmcnt=0wait for global read before writing to local
_ds_store_b32 v[vgprLocalWriteAddrA], v[vgprG2LA+12] offset:13056 // lwoA_0_0_12_0 = (0*LSCA)*(MT0I+PAD) + (12*LSPA) = 13056
v_mfma_f32_16x16x16_f16 a[92+0:95+0], v[vgprValuB_X1_I0+6+0+0:vgprValuB_X1_I0+6+0+0+1], v[vgprValuA_X1_I0+4+0+0:vgprValuA_X1_I0+4+0+0+1], a[92:95]
/*  mfmaIndex:82  */
_buffer_load_b32 v[vgprG2LA+12], v[vgprGlobalReadOffsetA+12], s[sgprSrdA:sgprSrdA+3], 0, offen offset:0 // G -> Reg 0_0_12_0
v_mfma_f32_16x16x16_f16 a[88+0:91+0], v[vgprValuB_X1_I0+6+0+0:vgprValuB_X1_I0+6+0+0+1], v[vgprValuA_X1_I0+2+0+0:vgprValuA_X1_I0+2+0+0+1], a[88:91]
/*  mfmaIndex:83  */
v_mfma_f32_16x16x16_f16 a[84+0:87+0], v[vgprValuB_X1_I0+6+0+0:vgprValuB_X1_I0+6+0+0+1], v[vgprValuA_X1_I0+0+0+0:vgprValuA_X1_I0+0+0+0+1], a[84:87]
/*  mfmaIndex:84  */
/* sched write - iter 1 writesPerItem=1 */
s_waitcnt vmcnt(0)                                 // lgkmcnt=-1 vmcnt=0wait for global read before writing to local
_ds_store_b32 v[vgprLocalWriteAddrA], v[vgprG2LA+13] offset:14144 // lwoA_0_0_13_0 = (0*LSCA)*(MT0I+PAD) + (13*LSPA) = 14144
v_mfma_f32_16x16x16_f16 a[112+0:115+0], v[vgprValuB_X1_I0+8+0+0:vgprValuB_X1_I0+8+0+0+1], v[vgprValuA_X1_I0+0+0+0:vgprValuA_X1_I0+0+0+0+1], a[112:115]
/*  mfmaIndex:85  */
_buffer_load_b32 v[vgprG2LA+13], v[vgprGlobalReadOffsetA+13], s[sgprSrdA:sgprSrdA+3], 0, offen offset:0 // G -> Reg 0_0_13_0
v_mfma_f32_16x16x16_f16 a[116+0:119+0], v[vgprValuB_X1_I0+8+0+0:vgprValuB_X1_I0+8+0+0+1], v[vgprValuA_X1_I0+2+0+0:vgprValuA_X1_I0+2+0+0+1], a[116:119]
/*  mfmaIndex:86  */
/* sched write - iter 1 writesPerItem=1 */
s_waitcnt vmcnt(0)                                 // lgkmcnt=-1 vmcnt=0wait for global read before writing to local
_ds_store_b32 v[vgprLocalWriteAddrA], v[vgprG2LA+14] offset:15232 // lwoA_0_0_14_0 = (0*LSCA)*(MT0I+PAD) + (14*LSPA) = 15232
v_mfma_f32_16x16x16_f16 a[120+0:123+0], v[vgprValuB_X1_I0+8+0+0:vgprValuB_X1_I0+8+0+0+1], v[vgprValuA_X1_I0+4+0+0:vgprValuA_X1_I0+4+0+0+1], a[120:123]
/*  mfmaIndex:87  */
_buffer_load_b32 v[vgprG2LA+14], v[vgprGlobalReadOffsetA+14], s[sgprSrdA:sgprSrdA+3], 0, offen offset:0 // G -> Reg 0_0_14_0
v_mfma_f32_16x16x16_f16 a[124+0:127+0], v[vgprValuB_X1_I0+8+0+0:vgprValuB_X1_I0+8+0+0+1], v[vgprValuA_X1_I0+6+0+0:vgprValuA_X1_I0+6+0+0+1], a[124:127]
/*  mfmaIndex:88  */
v_mfma_f32_16x16x16_f16 a[128+0:131+0], v[vgprValuB_X1_I0+8+0+0:vgprValuB_X1_I0+8+0+0+1], v[vgprValuA_X1_I0+8+0+0:vgprValuA_X1_I0+8+0+0+1], a[128:131]
/*  mfmaIndex:89  */
/* sched write - iter 1 writesPerItem=1 */
s_waitcnt vmcnt(0)                                 // lgkmcnt=-1 vmcnt=0wait for global read before writing to local
_ds_store_b32 v[vgprLocalWriteAddrA], v[vgprG2LA+15] offset:16320 // lwoA_0_0_15_0 = (0*LSCA)*(MT0I+PAD) + (15*LSPA) = 16320
v_mfma_f32_16x16x16_f16 a[132+0:135+0], v[vgprValuB_X1_I0+8+0+0:vgprValuB_X1_I0+8+0+0+1], v[vgprValuA_X1_I0+10+0+0:vgprValuA_X1_I0+10+0+0+1], a[132:135]
/*  mfmaIndex:90  */
_buffer_load_b32 v[vgprG2LA+15], v[vgprGlobalReadOffsetA+15], s[sgprSrdA:sgprSrdA+3], 0, offen offset:0 // G -> Reg 0_0_15_0
v_mfma_f32_16x16x16_f16 a[136+0:139+0], v[vgprValuB_X1_I0+8+0+0:vgprValuB_X1_I0+8+0+0+1], v[vgprValuA_X1_I0+12+0+0:vgprValuA_X1_I0+12+0+0+1], a[136:139]
/*  mfmaIndex:91  */
/* sched write - iter 1 writesPerItem=1 */
s_waitcnt vmcnt(0)                                 // lgkmcnt=-1 vmcnt=0wait for global read before writing to local
_ds_store_b32 v[vgprLocalWriteAddrA], v[vgprG2LA+16] offset:17408 // lwoA_0_0_16_0 = (0*LSCA)*(MT0I+PAD) + (16*LSPA) = 17408
v_mfma_f32_16x16x16_f16 a[164+0:167+0], v[vgprValuB_X1_I0+10+0+0:vgprValuB_X1_I0+10+0+0+1], v[vgprValuA_X1_I0+12+0+0:vgprValuA_X1_I0+12+0+0+1], a[164:167]
/*  mfmaIndex:92  */
_buffer_load_b32 v[vgprG2LA+16], v[vgprGlobalReadOffsetA+16], s[sgprSrdA:sgprSrdA+3], 0, offen offset:0 // G -> Reg 0_0_16_0
v_mfma_f32_16x16x16_f16 a[160+0:163+0], v[vgprValuB_X1_I0+10+0+0:vgprValuB_X1_I0+10+0+0+1], v[vgprValuA_X1_I0+10+0+0:vgprValuA_X1_I0+10+0+0+1], a[160:163]
/*  mfmaIndex:93  */
/* sched write - iter 1 writesPerItem=1 */
s_waitcnt vmcnt(0)                                 // lgkmcnt=-1 vmcnt=0wait for global read before writing to local
_ds_store_b32 v[vgprLocalWriteAddrA], v[vgprG2LA+17] offset:18496 // lwoA_0_0_17_0 = (0*LSCA)*(MT0I+PAD) + (17*LSPA) = 18496
v_mfma_f32_16x16x16_f16 a[156+0:159+0], v[vgprValuB_X1_I0+10+0+0:vgprValuB_X1_I0+10+0+0+1], v[vgprValuA_X1_I0+8+0+0:vgprValuA_X1_I0+8+0+0+1], a[156:159]
/*  mfmaIndex:94  */
_buffer_load_b32 v[vgprG2LA+17], v[vgprGlobalReadOffsetA+17], s[sgprSrdA:sgprSrdA+3], 0, offen offset:0 // G -> Reg 0_0_17_0
v_mfma_f32_16x16x16_f16 a[152+0:155+0], v[vgprValuB_X1_I0+10+0+0:vgprValuB_X1_I0+10+0+0+1], v[vgprValuA_X1_I0+6+0+0:vgprValuA_X1_I0+6+0+0+1], a[152:155]
/*  mfmaIndex:95  */
v_mfma_f32_16x16x16_f16 a[148+0:151+0], v[vgprValuB_X1_I0+10+0+0:vgprValuB_X1_I0+10+0+0+1], v[vgprValuA_X1_I0+4+0+0:vgprValuA_X1_I0+4+0+0+1], a[148:151]
/*  mfmaIndex:96  */
/* sched write - iter 1 writesPerItem=1 */
s_waitcnt vmcnt(0)                                 // lgkmcnt=-1 vmcnt=0wait for global read before writing to local
_ds_store_b32 v[vgprLocalWriteAddrA], v[vgprG2LA+18] offset:19584 // lwoA_0_0_18_0 = (0*LSCA)*(MT0I+PAD) + (18*LSPA) = 19584
v_mfma_f32_16x16x16_f16 a[144+0:147+0], v[vgprValuB_X1_I0+10+0+0:vgprValuB_X1_I0+10+0+0+1], v[vgprValuA_X1_I0+2+0+0:vgprValuA_X1_I0+2+0+0+1], a[144:147]
/*  mfmaIndex:97  */
_buffer_load_b32 v[vgprG2LA+18], v[vgprGlobalReadOffsetA+18], s[sgprSrdA:sgprSrdA+3], 0, offen offset:0 // G -> Reg 0_0_18_0
v_mfma_f32_16x16x16_f16 a[140+0:143+0], v[vgprValuB_X1_I0+10+0+0:vgprValuB_X1_I0+10+0+0+1], v[vgprValuA_X1_I0+0+0+0:vgprValuA_X1_I0+0+0+0+1], a[140:143]
/*  mfmaIndex:98  */
/* sched write - iter 1 writesPerItem=1 */
s_waitcnt vmcnt(0)                                 // lgkmcnt=-1 vmcnt=0wait for global read before writing to local
_ds_store_b32 v[vgprLocalWriteAddrA], v[vgprG2LA+19] offset:20672 // lwoA_0_0_19_0 = (0*LSCA)*(MT0I+PAD) + (19*LSPA) = 20672
v_mfma_f32_16x16x16_f16 a[168+0:171+0], v[vgprValuB_X1_I0+12+0+0:vgprValuB_X1_I0+12+0+0+1], v[vgprValuA_X1_I0+0+0+0:vgprValuA_X1_I0+0+0+0+1], a[168:171]
/*  mfmaIndex:99  */
_buffer_load_b32 v[vgprG2LA+19], v[vgprGlobalReadOffsetA+19], s[sgprSrdA:sgprSrdA+3], 0, offen offset:0 // G -> Reg 0_0_19_0
v_mfma_f32_16x16x16_f16 a[172+0:175+0], v[vgprValuB_X1_I0+12+0+0:vgprValuB_X1_I0+12+0+0+1], v[vgprValuA_X1_I0+2+0+0:vgprValuA_X1_I0+2+0+0+1], a[172:175]
/*  mfmaIndex:100  */
v_mfma_f32_16x16x16_f16 a[176+0:179+0], v[vgprValuB_X1_I0+12+0+0:vgprValuB_X1_I0+12+0+0+1], v[vgprValuA_X1_I0+4+0+0:vgprValuA_X1_I0+4+0+0+1], a[176:179]
/*  mfmaIndex:101  */
/* sched write - iter 1 writesPerItem=1 */
s_waitcnt vmcnt(0)                                 // lgkmcnt=-1 vmcnt=0wait for global read before writing to local
_ds_store_b32 v[vgprLocalWriteAddrA], v[vgprG2LA+20] offset:21760 // lwoA_0_0_20_0 = (0*LSCA)*(MT0I+PAD) + (20*LSPA) = 21760
v_mfma_f32_16x16x16_f16 a[180+0:183+0], v[vgprValuB_X1_I0+12+0+0:vgprValuB_X1_I0+12+0+0+1], v[vgprValuA_X1_I0+6+0+0:vgprValuA_X1_I0+6+0+0+1], a[180:183]
/*  mfmaIndex:102  */
_buffer_load_b32 v[vgprG2LA+20], v[vgprGlobalReadOffsetA+20], s[sgprSrdA:sgprSrdA+3], 0, offen offset:0 // G -> Reg 0_0_20_0
v_mfma_f32_16x16x16_f16 a[184+0:187+0], v[vgprValuB_X1_I0+12+0+0:vgprValuB_X1_I0+12+0+0+1], v[vgprValuA_X1_I0+8+0+0:vgprValuA_X1_I0+8+0+0+1], a[184:187]
/*  mfmaIndex:103  */
/* sched write - iter 1 writesPerItem=1 */
s_waitcnt vmcnt(0)                                 // lgkmcnt=-1 vmcnt=0wait for global read before writing to local
_ds_store_b32 v[vgprLocalWriteAddrA], v[vgprG2LA+21] offset:22848 // lwoA_0_0_21_0 = (0*LSCA)*(MT0I+PAD) + (21*LSPA) = 22848
v_mfma_f32_16x16x16_f16 a[188+0:191+0], v[vgprValuB_X1_I0+12+0+0:vgprValuB_X1_I0+12+0+0+1], v[vgprValuA_X1_I0+10+0+0:vgprValuA_X1_I0+10+0+0+1], a[188:191]
/*  mfmaIndex:104  */
_buffer_load_b32 v[vgprG2LA+21], v[vgprGlobalReadOffsetA+21], s[sgprSrdA:sgprSrdA+3], 0, offen offset:0 // G -> Reg 0_0_21_0
v_mfma_f32_16x16x16_f16 a[192+0:195+0], v[vgprValuB_X1_I0+12+0+0:vgprValuB_X1_I0+12+0+0+1], v[vgprValuA_X1_I0+12+0+0:vgprValuA_X1_I0+12+0+0+1], a[192:195]
/*  mfmaIndex:105  */
v_mfma_f32_16x16x16_f16 a[220+0:223+0], v[vgprValuB_X1_I0+14+0+0:vgprValuB_X1_I0+14+0+0+1], v[vgprValuA_X1_I0+12+0+0:vgprValuA_X1_I0+12+0+0+1], a[220:223]
/*  mfmaIndex:106  */
/* sched write - iter 1 writesPerItem=1 */
s_waitcnt vmcnt(0)                                 // lgkmcnt=-1 vmcnt=0wait for global read before writing to local
_ds_store_b32 v[vgprLocalWriteAddrA], v[vgprG2LA+22] offset:23936 // lwoA_0_0_22_0 = (0*LSCA)*(MT0I+PAD) + (22*LSPA) = 23936
v_mfma_f32_16x16x16_f16 a[216+0:219+0], v[vgprValuB_X1_I0+14+0+0:vgprValuB_X1_I0+14+0+0+1], v[vgprValuA_X1_I0+10+0+0:vgprValuA_X1_I0+10+0+0+1], a[216:219]
/*  mfmaIndex:107  */
_buffer_load_b32 v[vgprG2LA+22], v[vgprGlobalReadOffsetA+22], s[sgprSrdA:sgprSrdA+3], 0, offen offset:0 // G -> Reg 0_0_22_0
v_mfma_f32_16x16x16_f16 a[212+0:215+0], v[vgprValuB_X1_I0+14+0+0:vgprValuB_X1_I0+14+0+0+1], v[vgprValuA_X1_I0+8+0+0:vgprValuA_X1_I0+8+0+0+1], a[212:215]
/*  mfmaIndex:108  */
/* sched write - iter 1 writesPerItem=1 */
s_waitcnt vmcnt(0)                                 // lgkmcnt=-1 vmcnt=0wait for global read before writing to local
_ds_store_b32 v[vgprLocalWriteAddrA], v[vgprG2LA+23] offset:25024 // lwoA_0_0_23_0 = (0*LSCA)*(MT0I+PAD) + (23*LSPA) = 25024
v_mfma_f32_16x16x16_f16 a[208+0:211+0], v[vgprValuB_X1_I0+14+0+0:vgprValuB_X1_I0+14+0+0+1], v[vgprValuA_X1_I0+6+0+0:vgprValuA_X1_I0+6+0+0+1], a[208:211]
/*  mfmaIndex:109  */
_buffer_load_b32 v[vgprG2LA+23], v[vgprGlobalReadOffsetA+23], s[sgprSrdA:sgprSrdA+3], 0, offen offset:0 // G -> Reg 0_0_23_0
v_mfma_f32_16x16x16_f16 a[204+0:207+0], v[vgprValuB_X1_I0+14+0+0:vgprValuB_X1_I0+14+0+0+1], v[vgprValuA_X1_I0+4+0+0:vgprValuA_X1_I0+4+0+0+1], a[204:207]
/*  mfmaIndex:110  */
v_mfma_f32_16x16x16_f16 a[200+0:203+0], v[vgprValuB_X1_I0+14+0+0:vgprValuB_X1_I0+14+0+0+1], v[vgprValuA_X1_I0+2+0+0:vgprValuA_X1_I0+2+0+0+1], a[200:203]
/*  mfmaIndex:111  */
/* sched write - iter 1 writesPerItem=1 */
s_waitcnt vmcnt(0)                                 // lgkmcnt=-1 vmcnt=0wait for global read before writing to local
_ds_store_b32 v[vgprLocalWriteAddrA], v[vgprG2LA+24] offset:26112 // lwoA_0_0_24_0 = (0*LSCA)*(MT0I+PAD) + (24*LSPA) = 26112
v_mfma_f32_16x16x16_f16 a[196+0:199+0], v[vgprValuB_X1_I0+14+0+0:vgprValuB_X1_I0+14+0+0+1], v[vgprValuA_X1_I0+0+0+0:vgprValuA_X1_I0+0+0+0+1], a[196:199]


/* iter 2 (reset local read pointers iteration)  (swap local read pointers iteration)  */

/*  grEndMfmaIndex:18, lwStartMfmaIndex:52, lwEndMfmaIndex:198  */
/*  numMfmaForLR:20, barrierMfmaIndex:203, LocalWritePerMfma:0.405 */
/*  mfmaIndex:112  */
_buffer_load_b32 v[vgprG2LA+24], v[vgprGlobalReadOffsetA+24], s[sgprSrdA:sgprSrdA+3], 0, offen offset:0 // G -> Reg 0_0_24_0
v_mfma_f32_16x16x16_f16 a[0+0:3+0], v[vgprValuB_X2_I0+0+0+0:vgprValuB_X2_I0+0+0+0+1], v[vgprValuA_X2_I0+0+0+0:vgprValuA_X2_I0+0+0+0+1], a[0:3]
/*  mfmaIndex:113  */
/* sched write - iter 2 writesPerItem=1 */
s_waitcnt vmcnt(0)                                 // lgkmcnt=-1 vmcnt=0wait for global read before writing to local
_ds_store_b32 v[vgprLocalWriteAddrA], v[vgprG2LA+25] offset:27200 // lwoA_0_0_25_0 = (0*LSCA)*(MT0I+PAD) + (25*LSPA) = 27200
v_mfma_f32_16x16x16_f16 a[4+0:7+0], v[vgprValuB_X2_I0+0+0+0:vgprValuB_X2_I0+0+0+0+1], v[vgprValuA_X2_I0+2+0+0:vgprValuA_X2_I0+2+0+0+1], a[4:7]
/*  mfmaIndex:114  */
_buffer_load_b32 v[vgprG2LA+25], v[vgprGlobalReadOffsetA+25], s[sgprSrdA:sgprSrdA+3], 0, offen offset:0 // G -> Reg 0_0_25_0
v_mfma_f32_16x16x16_f16 a[8+0:11+0], v[vgprValuB_X2_I0+0+0+0:vgprValuB_X2_I0+0+0+0+1], v[vgprValuA_X2_I0+4+0+0:vgprValuA_X2_I0+4+0+0+1], a[8:11]
/*  mfmaIndex:115  */
v_mfma_f32_16x16x16_f16 a[12+0:15+0], v[vgprValuB_X2_I0+0+0+0:vgprValuB_X2_I0+0+0+0+1], v[vgprValuA_X2_I0+6+0+0:vgprValuA_X2_I0+6+0+0+1], a[12:15]
/*  mfmaIndex:116  */
/* sched write - iter 2 writesPerItem=1 */
s_waitcnt vmcnt(0)                                 // lgkmcnt=-1 vmcnt=0wait for global read before writing to local
_ds_store_b32 v[vgprLocalWriteAddrA], v[vgprG2LA+26] offset:28288 // lwoA_0_0_26_0 = (0*LSCA)*(MT0I+PAD) + (26*LSPA) = 28288
v_mfma_f32_16x16x16_f16 a[16+0:19+0], v[vgprValuB_X2_I0+0+0+0:vgprValuB_X2_I0+0+0+0+1], v[vgprValuA_X2_I0+8+0+0:vgprValuA_X2_I0+8+0+0+1], a[16:19]
/*  mfmaIndex:117  */
_buffer_load_b32 v[vgprG2LA+26], v[vgprGlobalReadOffsetA+26], s[sgprSrdA:sgprSrdA+3], 0, offen offset:0 // G -> Reg 0_0_26_0
v_mfma_f32_16x16x16_f16 a[20+0:23+0], v[vgprValuB_X2_I0+0+0+0:vgprValuB_X2_I0+0+0+0+1], v[vgprValuA_X2_I0+10+0+0:vgprValuA_X2_I0+10+0+0+1], a[20:23]
/*  mfmaIndex:118  */
/* sched write - iter 2 writesPerItem=1 */
s_waitcnt vmcnt(0)                                 // lgkmcnt=-1 vmcnt=0wait for global read before writing to local
_ds_store_b32 v[vgprLocalWriteAddrA], v[vgprG2LA+27] offset:29376 // lwoA_0_0_27_0 = (0*LSCA)*(MT0I+PAD) + (27*LSPA) = 29376
v_mfma_f32_16x16x16_f16 a[24+0:27+0], v[vgprValuB_X2_I0+0+0+0:vgprValuB_X2_I0+0+0+0+1], v[vgprValuA_X2_I0+12+0+0:vgprValuA_X2_I0+12+0+0+1], a[24:27]
/*  mfmaIndex:119  */
_buffer_load_b32 v[vgprG2LA+27], v[vgprGlobalReadOffsetA+27], s[sgprSrdA:sgprSrdA+3], 0, offen offset:0 // G -> Reg 0_0_27_0
v_mfma_f32_16x16x16_f16 a[52+0:55+0], v[vgprValuB_X2_I0+2+0+0:vgprValuB_X2_I0+2+0+0+1], v[vgprValuA_X2_I0+12+0+0:vgprValuA_X2_I0+12+0+0+1], a[52:55]
/*  mfmaIndex:120  */
v_mfma_f32_16x16x16_f16 a[48+0:51+0], v[vgprValuB_X2_I0+2+0+0:vgprValuB_X2_I0+2+0+0+1], v[vgprValuA_X2_I0+10+0+0:vgprValuA_X2_I0+10+0+0+1], a[48:51]
/*  mfmaIndex:121  */
/* sched write - iter 2 writesPerItem=1 */
s_waitcnt vmcnt(0)                                 // lgkmcnt=-1 vmcnt=0wait for global read before writing to local
_ds_store_b32 v[vgprLocalWriteAddrB], v[vgprG2LB+0] offset:0 // lwoB_0_0_0_0 = (0*LSCB)*(MT1J+PAD) + (0*LSPB) = 0
v_mfma_f32_16x16x16_f16 a[44+0:47+0], v[vgprValuB_X2_I0+2+0+0:vgprValuB_X2_I0+2+0+0+1], v[vgprValuA_X2_I0+8+0+0:vgprValuA_X2_I0+8+0+0+1], a[44:47]
/*  mfmaIndex:122  */
_buffer_load_b32 v[vgprG2LB+0], v[vgprGlobalReadOffsetB+0], s[sgprSrdB:sgprSrdB+3], 0, offen offset:0 // G -> Reg 0_0_0_0
v_mfma_f32_16x16x16_f16 a[40+0:43+0], v[vgprValuB_X2_I0+2+0+0:vgprValuB_X2_I0+2+0+0+1], v[vgprValuA_X2_I0+6+0+0:vgprValuA_X2_I0+6+0+0+1], a[40:43]
/*  mfmaIndex:123  */
/* sched write - iter 2 writesPerItem=1 */
s_waitcnt vmcnt(0)                                 // lgkmcnt=-1 vmcnt=0wait for global read before writing to local
_ds_store_b32 v[vgprLocalWriteAddrB], v[vgprG2LB+1] offset:1088 // lwoB_0_0_1_0 = (0*LSCB)*(MT1J+PAD) + (1*LSPB) = 1088
v_mfma_f32_16x16x16_f16 a[36+0:39+0], v[vgprValuB_X2_I0+2+0+0:vgprValuB_X2_I0+2+0+0+1], v[vgprValuA_X2_I0+4+0+0:vgprValuA_X2_I0+4+0+0+1], a[36:39]
/*  mfmaIndex:124  */
_buffer_load_b32 v[vgprG2LB+1], v[vgprGlobalReadOffsetB+1], s[sgprSrdB:sgprSrdB+3], 0, offen offset:0 // G -> Reg 0_0_1_0
v_mfma_f32_16x16x16_f16 a[32+0:35+0], v[vgprValuB_X2_I0+2+0+0:vgprValuB_X2_I0+2+0+0+1], v[vgprValuA_X2_I0+2+0+0:vgprValuA_X2_I0+2+0+0+1], a[32:35]
/*  mfmaIndex:125  */
v_mfma_f32_16x16x16_f16 a[28+0:31+0], v[vgprValuB_X2_I0+2+0+0:vgprValuB_X2_I0+2+0+0+1], v[vgprValuA_X2_I0+0+0+0:vgprValuA_X2_I0+0+0+0+1], a[28:31]
/*  mfmaIndex:126  */
/* sched write - iter 2 writesPerItem=1 */
s_waitcnt vmcnt(0)                                 // lgkmcnt=-1 vmcnt=0wait for global read before writing to local
_ds_store_b32 v[vgprLocalWriteAddrB], v[vgprG2LB+2] offset:2176 // lwoB_0_0_2_0 = (0*LSCB)*(MT1J+PAD) + (2*LSPB) = 2176
v_mfma_f32_16x16x16_f16 a[56+0:59+0], v[vgprValuB_X2_I0+4+0+0:vgprValuB_X2_I0+4+0+0+1], v[vgprValuA_X2_I0+0+0+0:vgprValuA_X2_I0+0+0+0+1], a[56:59]
/*  mfmaIndex:127  */
_buffer_load_b32 v[vgprG2LB+2], v[vgprGlobalReadOffsetB+2], s[sgprSrdB:sgprSrdB+3], 0, offen offset:0 // G -> Reg 0_0_2_0
v_mfma_f32_16x16x16_f16 a[60+0:63+0], v[vgprValuB_X2_I0+4+0+0:vgprValuB_X2_I0+4+0+0+1], v[vgprValuA_X2_I0+2+0+0:vgprValuA_X2_I0+2+0+0+1], a[60:63]
/*  mfmaIndex:128  */
/* sched write - iter 2 writesPerItem=1 */
s_waitcnt vmcnt(0)                                 // lgkmcnt=-1 vmcnt=0wait for global read before writing to local
_ds_store_b32 v[vgprLocalWriteAddrB], v[vgprG2LB+3] offset:3264 // lwoB_0_0_3_0 = (0*LSCB)*(MT1J+PAD) + (3*LSPB) = 3264
v_mfma_f32_16x16x16_f16 a[64+0:67+0], v[vgprValuB_X2_I0+4+0+0:vgprValuB_X2_I0+4+0+0+1], v[vgprValuA_X2_I0+4+0+0:vgprValuA_X2_I0+4+0+0+1], a[64:67]
/*  mfmaIndex:129  */
_buffer_load_b32 v[vgprG2LB+3], v[vgprGlobalReadOffsetB+3], s[sgprSrdB:sgprSrdB+3], 0, offen offset:0 // G -> Reg 0_0_3_0
v_mfma_f32_16x16x16_f16 a[68+0:71+0], v[vgprValuB_X2_I0+4+0+0:vgprValuB_X2_I0+4+0+0+1], v[vgprValuA_X2_I0+6+0+0:vgprValuA_X2_I0+6+0+0+1], a[68:71]
/*  mfmaIndex:130  */
v_mfma_f32_16x16x16_f16 a[72+0:75+0], v[vgprValuB_X2_I0+4+0+0:vgprValuB_X2_I0+4+0+0+1], v[vgprValuA_X2_I0+8+0+0:vgprValuA_X2_I0+8+0+0+1], a[72:75]
/*  mfmaIndex:131  */
/* sched write - iter 2 writesPerItem=1 */
s_waitcnt vmcnt(0)                                 // lgkmcnt=-1 vmcnt=0wait for global read before writing to local
_ds_store_b32 v[vgprLocalWriteAddrB], v[vgprG2LB+4] offset:4352 // lwoB_0_0_4_0 = (0*LSCB)*(MT1J+PAD) + (4*LSPB) = 4352
v_mfma_f32_16x16x16_f16 a[76+0:79+0], v[vgprValuB_X2_I0+4+0+0:vgprValuB_X2_I0+4+0+0+1], v[vgprValuA_X2_I0+10+0+0:vgprValuA_X2_I0+10+0+0+1], a[76:79]
/*  mfmaIndex:132  */
_buffer_load_b32 v[vgprG2LB+4], v[vgprGlobalReadOffsetB+4], s[sgprSrdB:sgprSrdB+3], 0, offen offset:0 // G -> Reg 0_0_4_0
v_mfma_f32_16x16x16_f16 a[80+0:83+0], v[vgprValuB_X2_I0+4+0+0:vgprValuB_X2_I0+4+0+0+1], v[vgprValuA_X2_I0+12+0+0:vgprValuA_X2_I0+12+0+0+1], a[80:83]
/*  mfmaIndex:133  */
/* sched write - iter 2 writesPerItem=1 */
s_waitcnt vmcnt(0)                                 // lgkmcnt=-1 vmcnt=0wait for global read before writing to local
_ds_store_b32 v[vgprLocalWriteAddrB], v[vgprG2LB+5] offset:5440 // lwoB_0_0_5_0 = (0*LSCB)*(MT1J+PAD) + (5*LSPB) = 5440
v_mfma_f32_16x16x16_f16 a[108+0:111+0], v[vgprValuB_X2_I0+6+0+0:vgprValuB_X2_I0+6+0+0+1], v[vgprValuA_X2_I0+12+0+0:vgprValuA_X2_I0+12+0+0+1], a[108:111]
/*  mfmaIndex:134  */
_buffer_load_b32 v[vgprG2LB+5], v[vgprGlobalReadOffsetB+5], s[sgprSrdB:sgprSrdB+3], 0, offen offset:0 // G -> Reg 0_0_5_0
v_mfma_f32_16x16x16_f16 a[104+0:107+0], v[vgprValuB_X2_I0+6+0+0:vgprValuB_X2_I0+6+0+0+1], v[vgprValuA_X2_I0+10+0+0:vgprValuA_X2_I0+10+0+0+1], a[104:107]
/*  mfmaIndex:135  */
/* sched write - iter 2 writesPerItem=1 */
s_waitcnt vmcnt(0)                                 // lgkmcnt=-1 vmcnt=0wait for global read before writing to local
_ds_store_b32 v[vgprLocalWriteAddrB], v[vgprG2LB+6] offset:6528 // lwoB_0_0_6_0 = (0*LSCB)*(MT1J+PAD) + (6*LSPB) = 6528
v_mfma_f32_16x16x16_f16 a[100+0:103+0], v[vgprValuB_X2_I0+6+0+0:vgprValuB_X2_I0+6+0+0+1], v[vgprValuA_X2_I0+8+0+0:vgprValuA_X2_I0+8+0+0+1], a[100:103]
/*  mfmaIndex:136  */
_buffer_load_b32 v[vgprG2LB+6], v[vgprGlobalReadOffsetB+6], s[sgprSrdB:sgprSrdB+3], 0, offen offset:0 // G -> Reg 0_0_6_0
v_mfma_f32_16x16x16_f16 a[96+0:99+0], v[vgprValuB_X2_I0+6+0+0:vgprValuB_X2_I0+6+0+0+1], v[vgprValuA_X2_I0+6+0+0:vgprValuA_X2_I0+6+0+0+1], a[96:99]
/*  mfmaIndex:137  */
v_mfma_f32_16x16x16_f16 a[92+0:95+0], v[vgprValuB_X2_I0+6+0+0:vgprValuB_X2_I0+6+0+0+1], v[vgprValuA_X2_I0+4+0+0:vgprValuA_X2_I0+4+0+0+1], a[92:95]
/*  mfmaIndex:138  */
/* sched write - iter 2 writesPerItem=1 */
s_waitcnt vmcnt(0)                                 // lgkmcnt=-1 vmcnt=0wait for global read before writing to local
_ds_store_b32 v[vgprLocalWriteAddrB], v[vgprG2LB+7] offset:7616 // lwoB_0_0_7_0 = (0*LSCB)*(MT1J+PAD) + (7*LSPB) = 7616
v_mfma_f32_16x16x16_f16 a[88+0:91+0], v[vgprValuB_X2_I0+6+0+0:vgprValuB_X2_I0+6+0+0+1], v[vgprValuA_X2_I0+2+0+0:vgprValuA_X2_I0+2+0+0+1], a[88:91]
/*  mfmaIndex:139  */
_buffer_load_b32 v[vgprG2LB+7], v[vgprGlobalReadOffsetB+7], s[sgprSrdB:sgprSrdB+3], 0, offen offset:0 // G -> Reg 0_0_7_0
v_mfma_f32_16x16x16_f16 a[84+0:87+0], v[vgprValuB_X2_I0+6+0+0:vgprValuB_X2_I0+6+0+0+1], v[vgprValuA_X2_I0+0+0+0:vgprValuA_X2_I0+0+0+0+1], a[84:87]
/*  mfmaIndex:140  */
/* sched write - iter 2 writesPerItem=1 */
s_waitcnt vmcnt(0)                                 // lgkmcnt=-1 vmcnt=0wait for global read before writing to local
_ds_store_b32 v[vgprLocalWriteAddrB], v[vgprG2LB+8] offset:8704 // lwoB_0_0_8_0 = (0*LSCB)*(MT1J+PAD) + (8*LSPB) = 8704
v_mfma_f32_16x16x16_f16 a[112+0:115+0], v[vgprValuB_X2_I0+8+0+0:vgprValuB_X2_I0+8+0+0+1], v[vgprValuA_X2_I0+0+0+0:vgprValuA_X2_I0+0+0+0+1], a[112:115]
/*  mfmaIndex:141  */
_buffer_load_b32 v[vgprG2LB+8], v[vgprGlobalReadOffsetB+8], s[sgprSrdB:sgprSrdB+3], 0, offen offset:0 // G -> Reg 0_0_8_0
v_mfma_f32_16x16x16_f16 a[116+0:119+0], v[vgprValuB_X2_I0+8+0+0:vgprValuB_X2_I0+8+0+0+1], v[vgprValuA_X2_I0+2+0+0:vgprValuA_X2_I0+2+0+0+1], a[116:119]
/*  mfmaIndex:142  */
v_mfma_f32_16x16x16_f16 a[120+0:123+0], v[vgprValuB_X2_I0+8+0+0:vgprValuB_X2_I0+8+0+0+1], v[vgprValuA_X2_I0+4+0+0:vgprValuA_X2_I0+4+0+0+1], a[120:123]
/*  mfmaIndex:143  */
/* sched write - iter 2 writesPerItem=1 */
s_waitcnt vmcnt(0)                                 // lgkmcnt=-1 vmcnt=0wait for global read before writing to local
_ds_store_b32 v[vgprLocalWriteAddrB], v[vgprG2LB+9] offset:9792 // lwoB_0_0_9_0 = (0*LSCB)*(MT1J+PAD) + (9*LSPB) = 9792
v_mfma_f32_16x16x16_f16 a[124+0:127+0], v[vgprValuB_X2_I0+8+0+0:vgprValuB_X2_I0+8+0+0+1], v[vgprValuA_X2_I0+6+0+0:vgprValuA_X2_I0+6+0+0+1], a[124:127]
/*  mfmaIndex:144  */
_buffer_load_b32 v[vgprG2LB+9], v[vgprGlobalReadOffsetB+9], s[sgprSrdB:sgprSrdB+3], 0, offen offset:0 // G -> Reg 0_0_9_0
v_mfma_f32_16x16x16_f16 a[128+0:131+0], v[vgprValuB_X2_I0+8+0+0:vgprValuB_X2_I0+8+0+0+1], v[vgprValuA_X2_I0+8+0+0:vgprValuA_X2_I0+8+0+0+1], a[128:131]
/*  mfmaIndex:145  */
/* sched write - iter 2 writesPerItem=1 */
s_waitcnt vmcnt(0)                                 // lgkmcnt=-1 vmcnt=0wait for global read before writing to local
_ds_store_b32 v[vgprLocalWriteAddrB], v[vgprG2LB+10] offset:10880 // lwoB_0_0_10_0 = (0*LSCB)*(MT1J+PAD) + (10*LSPB) = 10880
v_mfma_f32_16x16x16_f16 a[132+0:135+0], v[vgprValuB_X2_I0+8+0+0:vgprValuB_X2_I0+8+0+0+1], v[vgprValuA_X2_I0+10+0+0:vgprValuA_X2_I0+10+0+0+1], a[132:135]
/*  mfmaIndex:146  */
_buffer_load_b32 v[vgprG2LB+10], v[vgprGlobalReadOffsetB+10], s[sgprSrdB:sgprSrdB+3], 0, offen offset:0 // G -> Reg 0_0_10_0
v_mfma_f32_16x16x16_f16 a[136+0:139+0], v[vgprValuB_X2_I0+8+0+0:vgprValuB_X2_I0+8+0+0+1], v[vgprValuA_X2_I0+12+0+0:vgprValuA_X2_I0+12+0+0+1], a[136:139]
/*  mfmaIndex:147  */
v_mfma_f32_16x16x16_f16 a[164+0:167+0], v[vgprValuB_X2_I0+10+0+0:vgprValuB_X2_I0+10+0+0+1], v[vgprValuA_X2_I0+12+0+0:vgprValuA_X2_I0+12+0+0+1], a[164:167]
/*  mfmaIndex:148  */
/* sched write - iter 2 writesPerItem=1 */
s_waitcnt vmcnt(0)                                 // lgkmcnt=-1 vmcnt=0wait for global read before writing to local
_ds_store_b32 v[vgprLocalWriteAddrB], v[vgprG2LB+11] offset:11968 // lwoB_0_0_11_0 = (0*LSCB)*(MT1J+PAD) + (11*LSPB) = 11968
v_mfma_f32_16x16x16_f16 a[160+0:163+0], v[vgprValuB_X2_I0+10+0+0:vgprValuB_X2_I0+10+0+0+1], v[vgprValuA_X2_I0+10+0+0:vgprValuA_X2_I0+10+0+0+1], a[160:163]
/*  mfmaIndex:149  */
_buffer_load_b32 v[vgprG2LB+11], v[vgprGlobalReadOffsetB+11], s[sgprSrdB:sgprSrdB+3], 0, offen offset:0 // G -> Reg 0_0_11_0
v_mfma_f32_16x16x16_f16 a[156+0:159+0], v[vgprValuB_X2_I0+10+0+0:vgprValuB_X2_I0+10+0+0+1], v[vgprValuA_X2_I0+8+0+0:vgprValuA_X2_I0+8+0+0+1], a[156:159]
/*  mfmaIndex:150  */
/* sched write - iter 2 writesPerItem=1 */
s_waitcnt vmcnt(0)                                 // lgkmcnt=-1 vmcnt=0wait for global read before writing to local
_ds_store_b32 v[vgprLocalWriteAddrB], v[vgprG2LB+12] offset:13056 // lwoB_0_0_12_0 = (0*LSCB)*(MT1J+PAD) + (12*LSPB) = 13056
v_mfma_f32_16x16x16_f16 a[152+0:155+0], v[vgprValuB_X2_I0+10+0+0:vgprValuB_X2_I0+10+0+0+1], v[vgprValuA_X2_I0+6+0+0:vgprValuA_X2_I0+6+0+0+1], a[152:155]
/*  mfmaIndex:151  */
_buffer_load_b32 v[vgprG2LB+12], v[vgprGlobalReadOffsetB+12], s[sgprSrdB:sgprSrdB+3], 0, offen offset:0 // G -> Reg 0_0_12_0
v_mfma_f32_16x16x16_f16 a[148+0:151+0], v[vgprValuB_X2_I0+10+0+0:vgprValuB_X2_I0+10+0+0+1], v[vgprValuA_X2_I0+4+0+0:vgprValuA_X2_I0+4+0+0+1], a[148:151]
/*  mfmaIndex:152  */
v_mfma_f32_16x16x16_f16 a[144+0:147+0], v[vgprValuB_X2_I0+10+0+0:vgprValuB_X2_I0+10+0+0+1], v[vgprValuA_X2_I0+2+0+0:vgprValuA_X2_I0+2+0+0+1], a[144:147]
/*  mfmaIndex:153  */
/* sched write - iter 2 writesPerItem=1 */
s_waitcnt vmcnt(0)                                 // lgkmcnt=-1 vmcnt=0wait for global read before writing to local
_ds_store_b32 v[vgprLocalWriteAddrB], v[vgprG2LB+13] offset:14144 // lwoB_0_0_13_0 = (0*LSCB)*(MT1J+PAD) + (13*LSPB) = 14144
v_mfma_f32_16x16x16_f16 a[140+0:143+0], v[vgprValuB_X2_I0+10+0+0:vgprValuB_X2_I0+10+0+0+1], v[vgprValuA_X2_I0+0+0+0:vgprValuA_X2_I0+0+0+0+1], a[140:143]
/*  mfmaIndex:154  */
_buffer_load_b32 v[vgprG2LB+13], v[vgprGlobalReadOffsetB+13], s[sgprSrdB:sgprSrdB+3], 0, offen offset:0 // G -> Reg 0_0_13_0
v_mfma_f32_16x16x16_f16 a[168+0:171+0], v[vgprValuB_X2_I0+12+0+0:vgprValuB_X2_I0+12+0+0+1], v[vgprValuA_X2_I0+0+0+0:vgprValuA_X2_I0+0+0+0+1], a[168:171]
/*  mfmaIndex:155  */
/* sched write - iter 2 writesPerItem=1 */
s_waitcnt vmcnt(0)                                 // lgkmcnt=-1 vmcnt=0wait for global read before writing to local
_ds_store_b32 v[vgprLocalWriteAddrB], v[vgprG2LB+14] offset:15232 // lwoB_0_0_14_0 = (0*LSCB)*(MT1J+PAD) + (14*LSPB) = 15232
v_mfma_f32_16x16x16_f16 a[172+0:175+0], v[vgprValuB_X2_I0+12+0+0:vgprValuB_X2_I0+12+0+0+1], v[vgprValuA_X2_I0+2+0+0:vgprValuA_X2_I0+2+0+0+1], a[172:175]
/*  mfmaIndex:156  */
_buffer_load_b32 v[vgprG2LB+14], v[vgprGlobalReadOffsetB+14], s[sgprSrdB:sgprSrdB+3], 0, offen offset:0 // G -> Reg 0_0_14_0
v_mfma_f32_16x16x16_f16 a[176+0:179+0], v[vgprValuB_X2_I0+12+0+0:vgprValuB_X2_I0+12+0+0+1], v[vgprValuA_X2_I0+4+0+0:vgprValuA_X2_I0+4+0+0+1], a[176:179]
/*  mfmaIndex:157  */
v_mfma_f32_16x16x16_f16 a[180+0:183+0], v[vgprValuB_X2_I0+12+0+0:vgprValuB_X2_I0+12+0+0+1], v[vgprValuA_X2_I0+6+0+0:vgprValuA_X2_I0+6+0+0+1], a[180:183]
/*  mfmaIndex:158  */
/* sched write - iter 2 writesPerItem=1 */
s_waitcnt vmcnt(0)                                 // lgkmcnt=-1 vmcnt=0wait for global read before writing to local
_ds_store_b32 v[vgprLocalWriteAddrB], v[vgprG2LB+15] offset:16320 // lwoB_0_0_15_0 = (0*LSCB)*(MT1J+PAD) + (15*LSPB) = 16320
v_mfma_f32_16x16x16_f16 a[184+0:187+0], v[vgprValuB_X2_I0+12+0+0:vgprValuB_X2_I0+12+0+0+1], v[vgprValuA_X2_I0+8+0+0:vgprValuA_X2_I0+8+0+0+1], a[184:187]
/*  mfmaIndex:159  */
_buffer_load_b32 v[vgprG2LB+15], v[vgprGlobalReadOffsetB+15], s[sgprSrdB:sgprSrdB+3], 0, offen offset:0 // G -> Reg 0_0_15_0
v_mfma_f32_16x16x16_f16 a[188+0:191+0], v[vgprValuB_X2_I0+12+0+0:vgprValuB_X2_I0+12+0+0+1], v[vgprValuA_X2_I0+10+0+0:vgprValuA_X2_I0+10+0+0+1], a[188:191]
/*  mfmaIndex:160  */
/* sched write - iter 2 writesPerItem=1 */
s_waitcnt vmcnt(0)                                 // lgkmcnt=-1 vmcnt=0wait for global read before writing to local
_ds_store_b32 v[vgprLocalWriteAddrB], v[vgprG2LB+16] offset:17408 // lwoB_0_0_16_0 = (0*LSCB)*(MT1J+PAD) + (16*LSPB) = 17408
v_mfma_f32_16x16x16_f16 a[192+0:195+0], v[vgprValuB_X2_I0+12+0+0:vgprValuB_X2_I0+12+0+0+1], v[vgprValuA_X2_I0+12+0+0:vgprValuA_X2_I0+12+0+0+1], a[192:195]
/*  mfmaIndex:161  */
_buffer_load_b32 v[vgprG2LB+16], v[vgprGlobalReadOffsetB+16], s[sgprSrdB:sgprSrdB+3], 0, offen offset:0 // G -> Reg 0_0_16_0
v_mfma_f32_16x16x16_f16 a[220+0:223+0], v[vgprValuB_X2_I0+14+0+0:vgprValuB_X2_I0+14+0+0+1], v[vgprValuA_X2_I0+12+0+0:vgprValuA_X2_I0+12+0+0+1], a[220:223]
/*  mfmaIndex:162  */
v_mfma_f32_16x16x16_f16 a[216+0:219+0], v[vgprValuB_X2_I0+14+0+0:vgprValuB_X2_I0+14+0+0+1], v[vgprValuA_X2_I0+10+0+0:vgprValuA_X2_I0+10+0+0+1], a[216:219]
/*  mfmaIndex:163  */
/* sched write - iter 2 writesPerItem=1 */
s_waitcnt vmcnt(0)                                 // lgkmcnt=-1 vmcnt=0wait for global read before writing to local
_ds_store_b32 v[vgprLocalWriteAddrB], v[vgprG2LB+17] offset:18496 // lwoB_0_0_17_0 = (0*LSCB)*(MT1J+PAD) + (17*LSPB) = 18496
v_mfma_f32_16x16x16_f16 a[212+0:215+0], v[vgprValuB_X2_I0+14+0+0:vgprValuB_X2_I0+14+0+0+1], v[vgprValuA_X2_I0+8+0+0:vgprValuA_X2_I0+8+0+0+1], a[212:215]
/*  mfmaIndex:164  */
_buffer_load_b32 v[vgprG2LB+17], v[vgprGlobalReadOffsetB+17], s[sgprSrdB:sgprSrdB+3], 0, offen offset:0 // G -> Reg 0_0_17_0
v_mfma_f32_16x16x16_f16 a[208+0:211+0], v[vgprValuB_X2_I0+14+0+0:vgprValuB_X2_I0+14+0+0+1], v[vgprValuA_X2_I0+6+0+0:vgprValuA_X2_I0+6+0+0+1], a[208:211]
/*  mfmaIndex:165  */
/* sched write - iter 2 writesPerItem=1 */
s_waitcnt vmcnt(0)                                 // lgkmcnt=-1 vmcnt=0wait for global read before writing to local
_ds_store_b32 v[vgprLocalWriteAddrB], v[vgprG2LB+18] offset:19584 // lwoB_0_0_18_0 = (0*LSCB)*(MT1J+PAD) + (18*LSPB) = 19584
v_mfma_f32_16x16x16_f16 a[204+0:207+0], v[vgprValuB_X2_I0+14+0+0:vgprValuB_X2_I0+14+0+0+1], v[vgprValuA_X2_I0+4+0+0:vgprValuA_X2_I0+4+0+0+1], a[204:207]
/*  mfmaIndex:166  */
_buffer_load_b32 v[vgprG2LB+18], v[vgprGlobalReadOffsetB+18], s[sgprSrdB:sgprSrdB+3], 0, offen offset:0 // G -> Reg 0_0_18_0
v_mfma_f32_16x16x16_f16 a[200+0:203+0], v[vgprValuB_X2_I0+14+0+0:vgprValuB_X2_I0+14+0+0+1], v[vgprValuA_X2_I0+2+0+0:vgprValuA_X2_I0+2+0+0+1], a[200:203]
/*  mfmaIndex:167  */

/* local read swap offsets a */

/* local read swap offsets b */

/* local read init pointers a */

/* localReadInitPointers */

/* local read init pointers b */

/* localReadInitPointers */
v_mfma_f32_16x16x16_f16 a[196+0:199+0], v[vgprValuB_X2_I0+14+0+0:vgprValuB_X2_I0+14+0+0+1], v[vgprValuA_X2_I0+0+0+0:vgprValuA_X2_I0+0+0+0+1], a[196:199]


/* iter 3 (swap and reset local write pointers iteration)  */

/*  grEndMfmaIndex:18, lwStartMfmaIndex:52, lwEndMfmaIndex:198  */
/*  numMfmaForLR:20, barrierMfmaIndex:203, LocalWritePerMfma:0.405 */
/*  mfmaIndex:168  */
/* sched write - iter 3 writesPerItem=1 */
s_waitcnt vmcnt(0)                                 // lgkmcnt=-1 vmcnt=0wait for global read before writing to local
_ds_store_b32 v[vgprLocalWriteAddrB], v[vgprG2LB+19] offset:20672 // lwoB_0_0_19_0 = (0*LSCB)*(MT1J+PAD) + (19*LSPB) = 20672
v_mfma_f32_16x16x16_f16 a[0+0:3+0], v[vgprValuB_X3_I0+0+0+0:vgprValuB_X3_I0+0+0+0+1], v[vgprValuA_X3_I0+0+0+0:vgprValuA_X3_I0+0+0+0+1], a[0:3]
/*  mfmaIndex:169  */
_buffer_load_b32 v[vgprG2LB+19], v[vgprGlobalReadOffsetB+19], s[sgprSrdB:sgprSrdB+3], 0, offen offset:0 // G -> Reg 0_0_19_0
v_mfma_f32_16x16x16_f16 a[4+0:7+0], v[vgprValuB_X3_I0+0+0+0:vgprValuB_X3_I0+0+0+0+1], v[vgprValuA_X3_I0+2+0+0:vgprValuA_X3_I0+2+0+0+1], a[4:7]
/*  mfmaIndex:170  */
/* sched write - iter 3 writesPerItem=1 */
s_waitcnt vmcnt(0)                                 // lgkmcnt=-1 vmcnt=0wait for global read before writing to local
_ds_store_b32 v[vgprLocalWriteAddrB], v[vgprG2LB+20] offset:21760 // lwoB_0_0_20_0 = (0*LSCB)*(MT1J+PAD) + (20*LSPB) = 21760
v_mfma_f32_16x16x16_f16 a[8+0:11+0], v[vgprValuB_X3_I0+0+0+0:vgprValuB_X3_I0+0+0+0+1], v[vgprValuA_X3_I0+4+0+0:vgprValuA_X3_I0+4+0+0+1], a[8:11]
/*  mfmaIndex:171  */
_buffer_load_b32 v[vgprG2LB+20], v[vgprGlobalReadOffsetB+20], s[sgprSrdB:sgprSrdB+3], 0, offen offset:0 // G -> Reg 0_0_20_0
v_mfma_f32_16x16x16_f16 a[12+0:15+0], v[vgprValuB_X3_I0+0+0+0:vgprValuB_X3_I0+0+0+0+1], v[vgprValuA_X3_I0+6+0+0:vgprValuA_X3_I0+6+0+0+1], a[12:15]
/*  mfmaIndex:172  */
/* sched write - iter 3 writesPerItem=1 */
s_waitcnt vmcnt(0)                                 // lgkmcnt=-1 vmcnt=0wait for global read before writing to local
_ds_store_b32 v[vgprLocalWriteAddrB], v[vgprG2LB+21] offset:22848 // lwoB_0_0_21_0 = (0*LSCB)*(MT1J+PAD) + (21*LSPB) = 22848
v_mfma_f32_16x16x16_f16 a[16+0:19+0], v[vgprValuB_X3_I0+0+0+0:vgprValuB_X3_I0+0+0+0+1], v[vgprValuA_X3_I0+8+0+0:vgprValuA_X3_I0+8+0+0+1], a[16:19]
/*  mfmaIndex:173  */
_buffer_load_b32 v[vgprG2LB+21], v[vgprGlobalReadOffsetB+21], s[sgprSrdB:sgprSrdB+3], 0, offen offset:0 // G -> Reg 0_0_21_0
v_mfma_f32_16x16x16_f16 a[20+0:23+0], v[vgprValuB_X3_I0+0+0+0:vgprValuB_X3_I0+0+0+0+1], v[vgprValuA_X3_I0+10+0+0:vgprValuA_X3_I0+10+0+0+1], a[20:23]
/*  mfmaIndex:174  */
v_mfma_f32_16x16x16_f16 a[24+0:27+0], v[vgprValuB_X3_I0+0+0+0:vgprValuB_X3_I0+0+0+0+1], v[vgprValuA_X3_I0+12+0+0:vgprValuA_X3_I0+12+0+0+1], a[24:27]
/*  mfmaIndex:175  */
/* sched write - iter 3 writesPerItem=1 */
s_waitcnt vmcnt(0)                                 // lgkmcnt=-1 vmcnt=0wait for global read before writing to local
_ds_store_b32 v[vgprLocalWriteAddrB], v[vgprG2LB+22] offset:23936 // lwoB_0_0_22_0 = (0*LSCB)*(MT1J+PAD) + (22*LSPB) = 23936
v_mfma_f32_16x16x16_f16 a[52+0:55+0], v[vgprValuB_X3_I0+2+0+0:vgprValuB_X3_I0+2+0+0+1], v[vgprValuA_X3_I0+12+0+0:vgprValuA_X3_I0+12+0+0+1], a[52:55]
/*  mfmaIndex:176  */
_buffer_load_b32 v[vgprG2LB+22], v[vgprGlobalReadOffsetB+22], s[sgprSrdB:sgprSrdB+3], 0, offen offset:0 // G -> Reg 0_0_22_0
v_mfma_f32_16x16x16_f16 a[48+0:51+0], v[vgprValuB_X3_I0+2+0+0:vgprValuB_X3_I0+2+0+0+1], v[vgprValuA_X3_I0+10+0+0:vgprValuA_X3_I0+10+0+0+1], a[48:51]
/*  mfmaIndex:177  */
/* sched write - iter 3 writesPerItem=1 */
s_waitcnt vmcnt(0)                                 // lgkmcnt=-1 vmcnt=0wait for global read before writing to local
_ds_store_b32 v[vgprLocalWriteAddrB], v[vgprG2LB+23] offset:25024 // lwoB_0_0_23_0 = (0*LSCB)*(MT1J+PAD) + (23*LSPB) = 25024
v_mfma_f32_16x16x16_f16 a[44+0:47+0], v[vgprValuB_X3_I0+2+0+0:vgprValuB_X3_I0+2+0+0+1], v[vgprValuA_X3_I0+8+0+0:vgprValuA_X3_I0+8+0+0+1], a[44:47]
/*  mfmaIndex:178  */
_buffer_load_b32 v[vgprG2LB+23], v[vgprGlobalReadOffsetB+23], s[sgprSrdB:sgprSrdB+3], 0, offen offset:0 // G -> Reg 0_0_23_0
v_mfma_f32_16x16x16_f16 a[40+0:43+0], v[vgprValuB_X3_I0+2+0+0:vgprValuB_X3_I0+2+0+0+1], v[vgprValuA_X3_I0+6+0+0:vgprValuA_X3_I0+6+0+0+1], a[40:43]
/*  mfmaIndex:179  */
v_mfma_f32_16x16x16_f16 a[36+0:39+0], v[vgprValuB_X3_I0+2+0+0:vgprValuB_X3_I0+2+0+0+1], v[vgprValuA_X3_I0+4+0+0:vgprValuA_X3_I0+4+0+0+1], a[36:39]
/*  mfmaIndex:180  */
/* sched write - iter 3 writesPerItem=1 */
s_waitcnt vmcnt(0)                                 // lgkmcnt=-1 vmcnt=0wait for global read before writing to local
_ds_store_b32 v[vgprLocalWriteAddrB], v[vgprG2LB+24] offset:26112 // lwoB_0_0_24_0 = (0*LSCB)*(MT1J+PAD) + (24*LSPB) = 26112
v_mfma_f32_16x16x16_f16 a[32+0:35+0], v[vgprValuB_X3_I0+2+0+0:vgprValuB_X3_I0+2+0+0+1], v[vgprValuA_X3_I0+2+0+0:vgprValuA_X3_I0+2+0+0+1], a[32:35]
/*  mfmaIndex:181  */
_buffer_load_b32 v[vgprG2LB+24], v[vgprGlobalReadOffsetB+24], s[sgprSrdB:sgprSrdB+3], 0, offen offset:0 // G -> Reg 0_0_24_0
v_mfma_f32_16x16x16_f16 a[28+0:31+0], v[vgprValuB_X3_I0+2+0+0:vgprValuB_X3_I0+2+0+0+1], v[vgprValuA_X3_I0+0+0+0:vgprValuA_X3_I0+0+0+0+1], a[28:31]
/*  mfmaIndex:182  */
/* sched write - iter 3 writesPerItem=1 */
s_waitcnt vmcnt(0)                                 // lgkmcnt=-1 vmcnt=0wait for global read before writing to local
_ds_store_b32 v[vgprLocalWriteAddrB], v[vgprG2LB+25] offset:27200 // lwoB_0_0_25_0 = (0*LSCB)*(MT1J+PAD) + (25*LSPB) = 27200
v_mfma_f32_16x16x16_f16 a[56+0:59+0], v[vgprValuB_X3_I0+4+0+0:vgprValuB_X3_I0+4+0+0+1], v[vgprValuA_X3_I0+0+0+0:vgprValuA_X3_I0+0+0+0+1], a[56:59]
/*  mfmaIndex:183  */
_buffer_load_b32 v[vgprG2LB+25], v[vgprGlobalReadOffsetB+25], s[sgprSrdB:sgprSrdB+3], 0, offen offset:0 // G -> Reg 0_0_25_0
v_mfma_f32_16x16x16_f16 a[60+0:63+0], v[vgprValuB_X3_I0+4+0+0:vgprValuB_X3_I0+4+0+0+1], v[vgprValuA_X3_I0+2+0+0:vgprValuA_X3_I0+2+0+0+1], a[60:63]
/*  mfmaIndex:184  */
v_mfma_f32_16x16x16_f16 a[64+0:67+0], v[vgprValuB_X3_I0+4+0+0:vgprValuB_X3_I0+4+0+0+1], v[vgprValuA_X3_I0+4+0+0:vgprValuA_X3_I0+4+0+0+1], a[64:67]
/*  mfmaIndex:185  */
/* sched write - iter 3 writesPerItem=1 */
s_waitcnt vmcnt(0)                                 // lgkmcnt=-1 vmcnt=0wait for global read before writing to local
_ds_store_b32 v[vgprLocalWriteAddrB], v[vgprG2LB+26] offset:28288 // lwoB_0_0_26_0 = (0*LSCB)*(MT1J+PAD) + (26*LSPB) = 28288
v_mfma_f32_16x16x16_f16 a[68+0:71+0], v[vgprValuB_X3_I0+4+0+0:vgprValuB_X3_I0+4+0+0+1], v[vgprValuA_X3_I0+6+0+0:vgprValuA_X3_I0+6+0+0+1], a[68:71]
/*  mfmaIndex:186  */
_buffer_load_b32 v[vgprG2LB+26], v[vgprGlobalReadOffsetB+26], s[sgprSrdB:sgprSrdB+3], 0, offen offset:0 // G -> Reg 0_0_26_0
v_mfma_f32_16x16x16_f16 a[72+0:75+0], v[vgprValuB_X3_I0+4+0+0:vgprValuB_X3_I0+4+0+0+1], v[vgprValuA_X3_I0+8+0+0:vgprValuA_X3_I0+8+0+0+1], a[72:75]
/*  mfmaIndex:187  */
/* sched write - iter 3 writesPerItem=1 */
s_waitcnt vmcnt(0)                                 // lgkmcnt=-1 vmcnt=0wait for global read before writing to local
_ds_store_b32 v[vgprLocalWriteAddrB], v[vgprG2LB+27] offset:29376 // lwoB_0_0_27_0 = (0*LSCB)*(MT1J+PAD) + (27*LSPB) = 29376
v_mfma_f32_16x16x16_f16 a[76+0:79+0], v[vgprValuB_X3_I0+4+0+0:vgprValuB_X3_I0+4+0+0+1], v[vgprValuA_X3_I0+10+0+0:vgprValuA_X3_I0+10+0+0+1], a[76:79]
/*  mfmaIndex:188  */
_buffer_load_b32 v[vgprG2LB+27], v[vgprGlobalReadOffsetB+27], s[sgprSrdB:sgprSrdB+3], 0, offen offset:0 // G -> Reg 0_0_27_0
v_mfma_f32_16x16x16_f16 a[80+0:83+0], v[vgprValuB_X3_I0+4+0+0:vgprValuB_X3_I0+4+0+0+1], v[vgprValuA_X3_I0+12+0+0:vgprValuA_X3_I0+12+0+0+1], a[80:83]
/*  mfmaIndex:189  */
v_mfma_f32_16x16x16_f16 a[108+0:111+0], v[vgprValuB_X3_I0+6+0+0:vgprValuB_X3_I0+6+0+0+1], v[vgprValuA_X3_I0+12+0+0:vgprValuA_X3_I0+12+0+0+1], a[108:111]
/*  mfmaIndex:190  */
/* sched write - iter 3 writesPerItem=1 */
s_waitcnt vmcnt(0)                                 // lgkmcnt=-1 vmcnt=0wait for global read before writing to local
_ds_store_b32 v[vgprLocalWriteAddrB], v[vgprG2LB+28] offset:30464 // lwoB_0_0_28_0 = (0*LSCB)*(MT1J+PAD) + (28*LSPB) = 30464
v_mfma_f32_16x16x16_f16 a[104+0:107+0], v[vgprValuB_X3_I0+6+0+0:vgprValuB_X3_I0+6+0+0+1], v[vgprValuA_X3_I0+10+0+0:vgprValuA_X3_I0+10+0+0+1], a[104:107]
/*  mfmaIndex:191  */
_buffer_load_b32 v[vgprG2LB+28], v[vgprGlobalReadOffsetB+28], s[sgprSrdB:sgprSrdB+3], 0, offen offset:0 // G -> Reg 0_0_28_0
v_mfma_f32_16x16x16_f16 a[100+0:103+0], v[vgprValuB_X3_I0+6+0+0:vgprValuB_X3_I0+6+0+0+1], v[vgprValuA_X3_I0+8+0+0:vgprValuA_X3_I0+8+0+0+1], a[100:103]
/*  mfmaIndex:192  */
/* sched write - iter 3 writesPerItem=1 */
s_waitcnt vmcnt(0)                                 // lgkmcnt=-1 vmcnt=0wait for global read before writing to local
_ds_store_b32 v[vgprLocalWriteAddrB], v[vgprG2LB+29] offset:31552 // lwoB_0_0_29_0 = (0*LSCB)*(MT1J+PAD) + (29*LSPB) = 31552
v_mfma_f32_16x16x16_f16 a[96+0:99+0], v[vgprValuB_X3_I0+6+0+0:vgprValuB_X3_I0+6+0+0+1], v[vgprValuA_X3_I0+6+0+0:vgprValuA_X3_I0+6+0+0+1], a[96:99]
/*  mfmaIndex:193  */
_buffer_load_b32 v[vgprG2LB+29], v[vgprGlobalReadOffsetB+29], s[sgprSrdB:sgprSrdB+3], 0, offen offset:0 // G -> Reg 0_0_29_0
v_mfma_f32_16x16x16_f16 a[92+0:95+0], v[vgprValuB_X3_I0+6+0+0:vgprValuB_X3_I0+6+0+0+1], v[vgprValuA_X3_I0+4+0+0:vgprValuA_X3_I0+4+0+0+1], a[92:95]
/*  mfmaIndex:194  */
v_mfma_f32_16x16x16_f16 a[88+0:91+0], v[vgprValuB_X3_I0+6+0+0:vgprValuB_X3_I0+6+0+0+1], v[vgprValuA_X3_I0+2+0+0:vgprValuA_X3_I0+2+0+0+1], a[88:91]
/*  mfmaIndex:195  */
/* sched write - iter 3 writesPerItem=1 */
s_waitcnt vmcnt(0)                                 // lgkmcnt=-1 vmcnt=0wait for global read before writing to local
_ds_store_b32 v[vgprLocalWriteAddrB], v[vgprG2LB+30] offset:32640 // lwoB_0_0_30_0 = (0*LSCB)*(MT1J+PAD) + (30*LSPB) = 32640
v_mfma_f32_16x16x16_f16 a[84+0:87+0], v[vgprValuB_X3_I0+6+0+0:vgprValuB_X3_I0+6+0+0+1], v[vgprValuA_X3_I0+0+0+0:vgprValuA_X3_I0+0+0+0+1], a[84:87]
/*  mfmaIndex:196  */
_buffer_load_b32 v[vgprG2LB+30], v[vgprGlobalReadOffsetB+30], s[sgprSrdB:sgprSrdB+3], 0, offen offset:0 // G -> Reg 0_0_30_0
v_mfma_f32_16x16x16_f16 a[112+0:115+0], v[vgprValuB_X3_I0+8+0+0:vgprValuB_X3_I0+8+0+0+1], v[vgprValuA_X3_I0+0+0+0:vgprValuA_X3_I0+0+0+0+1], a[112:115]
/*  mfmaIndex:197  */
/* sched write - iter 3 writesPerItem=1 */
s_waitcnt vmcnt(0)                                 // lgkmcnt=-1 vmcnt=0wait for global read before writing to local
_ds_store_b32 v[vgprLocalWriteAddrB], v[vgprG2LB+31] offset:33728 // lwoB_0_0_31_0 = (0*LSCB)*(MT1J+PAD) + (31*LSPB) = 33728
v_mfma_f32_16x16x16_f16 a[116+0:119+0], v[vgprValuB_X3_I0+8+0+0:vgprValuB_X3_I0+8+0+0+1], v[vgprValuA_X3_I0+2+0+0:vgprValuA_X3_I0+2+0+0+1], a[116:119]
/*  mfmaIndex:198  */
_buffer_load_b32 v[vgprG2LB+31], v[vgprGlobalReadOffsetB+31], s[sgprSrdB:sgprSrdB+3], 0, offen offset:0 // G -> Reg 0_0_31_0

/* local write swap offsets a */

/* local write swap offsets b */
v_mfma_f32_16x16x16_f16 a[120+0:123+0], v[vgprValuB_X3_I0+8+0+0:vgprValuB_X3_I0+8+0+0+1], v[vgprValuA_X3_I0+4+0+0:vgprValuA_X3_I0+4+0+0+1], a[120:123]
/*  mfmaIndex:199  */
v_mfma_f32_16x16x16_f16 a[124+0:127+0], v[vgprValuB_X3_I0+8+0+0:vgprValuB_X3_I0+8+0+0+1], v[vgprValuA_X3_I0+6+0+0:vgprValuA_X3_I0+6+0+0+1], a[124:127]
/*  mfmaIndex:200  */
	;; [unrolled: 2-line block ×4, first 2 shown]
v_mfma_f32_16x16x16_f16 a[136+0:139+0], v[vgprValuB_X3_I0+8+0+0:vgprValuB_X3_I0+8+0+0+1], v[vgprValuA_X3_I0+12+0+0:vgprValuA_X3_I0+12+0+0+1], a[136:139]
s_setprio 0                                        // store optimization
/*  mfmaIndex:203  */
s_waitcnt lgkmcnt(0)                               // lgkmcnt=0 vmcnt=-13wait for local write
// Skip force waitcnt0
s_barrier //
v_mfma_f32_16x16x16_f16 a[164+0:167+0], v[vgprValuB_X3_I0+10+0+0:vgprValuB_X3_I0+10+0+0+1], v[vgprValuA_X3_I0+12+0+0:vgprValuA_X3_I0+12+0+0+1], a[164:167]
/*  mfmaIndex:204  */
s_setprio 3                                        // store optimization
_ds_load_b64 v[vgprValuA_X0_I0+0:vgprValuA_X0_I0+0+1], v[vgprLocalReadAddrA] offset:0 // L -> Reg lro=0 swapByteOffset=0 ti=32 vIdx=0 rIdx=0 oIdx=0 buffer=0 iui=0
v_mfma_f32_16x16x16_f16 a[160+0:163+0], v[vgprValuB_X3_I0+10+0+0:vgprValuB_X3_I0+10+0+0+1], v[vgprValuA_X3_I0+10+0+0:vgprValuA_X3_I0+10+0+0+1], a[160:163]
/*  mfmaIndex:205  */
_ds_load_b64 v[vgprValuB_X0_I0+0:vgprValuB_X0_I0+0+1], v[vgprLocalReadAddrB] offset:0 // L -> Reg lro=0 swapByteOffset=0 ti=32 vIdx=0 rIdx=0 oIdx=0 buffer=0 iui=0
v_mfma_f32_16x16x16_f16 a[156+0:159+0], v[vgprValuB_X3_I0+10+0+0:vgprValuB_X3_I0+10+0+0+1], v[vgprValuA_X3_I0+8+0+0:vgprValuA_X3_I0+8+0+0+1], a[156:159]
/*  mfmaIndex:206  */
_ds_load_b64 v[vgprValuA_X0_I0+2:vgprValuA_X0_I0+2+1], v[vgprLocalReadAddrA] offset:4352 // L -> Reg lro=0 swapByteOffset=0 ti=32 vIdx=1 rIdx=0 oIdx=0 buffer=0 iui=0
v_mfma_f32_16x16x16_f16 a[152+0:155+0], v[vgprValuB_X3_I0+10+0+0:vgprValuB_X3_I0+10+0+0+1], v[vgprValuA_X3_I0+6+0+0:vgprValuA_X3_I0+6+0+0+1], a[152:155]
/*  mfmaIndex:207  */
_ds_load_b64 v[vgprValuA_X0_I0+4:vgprValuA_X0_I0+4+1], v[vgprLocalReadAddrA] offset:8704 // L -> Reg lro=0 swapByteOffset=0 ti=32 vIdx=2 rIdx=0 oIdx=0 buffer=0 iui=0
v_mfma_f32_16x16x16_f16 a[148+0:151+0], v[vgprValuB_X3_I0+10+0+0:vgprValuB_X3_I0+10+0+0+1], v[vgprValuA_X3_I0+4+0+0:vgprValuA_X3_I0+4+0+0+1], a[148:151]
/*  mfmaIndex:208  */
_ds_load_b64 v[vgprValuA_X0_I0+6:vgprValuA_X0_I0+6+1], v[vgprLocalReadAddrA] offset:13056 // L -> Reg lro=0 swapByteOffset=0 ti=32 vIdx=3 rIdx=0 oIdx=0 buffer=0 iui=0
v_mfma_f32_16x16x16_f16 a[144+0:147+0], v[vgprValuB_X3_I0+10+0+0:vgprValuB_X3_I0+10+0+0+1], v[vgprValuA_X3_I0+2+0+0:vgprValuA_X3_I0+2+0+0+1], a[144:147]
/*  mfmaIndex:209  */
_ds_load_b64 v[vgprValuA_X0_I0+8:vgprValuA_X0_I0+8+1], v[vgprLocalReadAddrA] offset:17408 // L -> Reg lro=0 swapByteOffset=0 ti=32 vIdx=4 rIdx=0 oIdx=0 buffer=0 iui=0
v_mfma_f32_16x16x16_f16 a[140+0:143+0], v[vgprValuB_X3_I0+10+0+0:vgprValuB_X3_I0+10+0+0+1], v[vgprValuA_X3_I0+0+0+0:vgprValuA_X3_I0+0+0+0+1], a[140:143]
/*  mfmaIndex:210  */
_ds_load_b64 v[vgprValuA_X0_I0+10:vgprValuA_X0_I0+10+1], v[vgprLocalReadAddrA] offset:21760 // L -> Reg lro=0 swapByteOffset=0 ti=32 vIdx=5 rIdx=0 oIdx=0 buffer=0 iui=0
v_mfma_f32_16x16x16_f16 a[168+0:171+0], v[vgprValuB_X3_I0+12+0+0:vgprValuB_X3_I0+12+0+0+1], v[vgprValuA_X3_I0+0+0+0:vgprValuA_X3_I0+0+0+0+1], a[168:171]
/*  mfmaIndex:211  */
_ds_load_b64 v[vgprValuA_X0_I0+12:vgprValuA_X0_I0+12+1], v[vgprLocalReadAddrA] offset:26112 // L -> Reg lro=0 swapByteOffset=0 ti=32 vIdx=6 rIdx=0 oIdx=0 buffer=0 iui=0
v_mfma_f32_16x16x16_f16 a[172+0:175+0], v[vgprValuB_X3_I0+12+0+0:vgprValuB_X3_I0+12+0+0+1], v[vgprValuA_X3_I0+2+0+0:vgprValuA_X3_I0+2+0+0+1], a[172:175]
/*  mfmaIndex:212  */
_ds_load_b64 v[vgprValuB_X0_I0+2:vgprValuB_X0_I0+2+1], v[vgprLocalReadAddrB] offset:4352 // L -> Reg lro=0 swapByteOffset=0 ti=32 vIdx=1 rIdx=0 oIdx=0 buffer=0 iui=0
v_mfma_f32_16x16x16_f16 a[176+0:179+0], v[vgprValuB_X3_I0+12+0+0:vgprValuB_X3_I0+12+0+0+1], v[vgprValuA_X3_I0+4+0+0:vgprValuA_X3_I0+4+0+0+1], a[176:179]
/*  mfmaIndex:213  */
_ds_load_b64 v[vgprValuB_X0_I0+4:vgprValuB_X0_I0+4+1], v[vgprLocalReadAddrB] offset:8704 // L -> Reg lro=0 swapByteOffset=0 ti=32 vIdx=2 rIdx=0 oIdx=0 buffer=0 iui=0
v_mfma_f32_16x16x16_f16 a[180+0:183+0], v[vgprValuB_X3_I0+12+0+0:vgprValuB_X3_I0+12+0+0+1], v[vgprValuA_X3_I0+6+0+0:vgprValuA_X3_I0+6+0+0+1], a[180:183]
/*  mfmaIndex:214  */
_ds_load_b64 v[vgprValuB_X0_I0+6:vgprValuB_X0_I0+6+1], v[vgprLocalReadAddrB] offset:13056 // L -> Reg lro=0 swapByteOffset=0 ti=32 vIdx=3 rIdx=0 oIdx=0 buffer=0 iui=0
v_mfma_f32_16x16x16_f16 a[184+0:187+0], v[vgprValuB_X3_I0+12+0+0:vgprValuB_X3_I0+12+0+0+1], v[vgprValuA_X3_I0+8+0+0:vgprValuA_X3_I0+8+0+0+1], a[184:187]
/*  mfmaIndex:215  */
_ds_load_b64 v[vgprValuB_X0_I0+8:vgprValuB_X0_I0+8+1], v[vgprLocalReadAddrB] offset:17408 // L -> Reg lro=0 swapByteOffset=0 ti=32 vIdx=4 rIdx=0 oIdx=0 buffer=0 iui=0
v_mfma_f32_16x16x16_f16 a[188+0:191+0], v[vgprValuB_X3_I0+12+0+0:vgprValuB_X3_I0+12+0+0+1], v[vgprValuA_X3_I0+10+0+0:vgprValuA_X3_I0+10+0+0+1], a[188:191]
/*  mfmaIndex:216  */
_ds_load_b64 v[vgprValuB_X0_I0+10:vgprValuB_X0_I0+10+1], v[vgprLocalReadAddrB] offset:21760 // L -> Reg lro=0 swapByteOffset=0 ti=32 vIdx=5 rIdx=0 oIdx=0 buffer=0 iui=0
v_mfma_f32_16x16x16_f16 a[192+0:195+0], v[vgprValuB_X3_I0+12+0+0:vgprValuB_X3_I0+12+0+0+1], v[vgprValuA_X3_I0+12+0+0:vgprValuA_X3_I0+12+0+0+1], a[192:195]
/*  mfmaIndex:217  */
_ds_load_b64 v[vgprValuB_X0_I0+12:vgprValuB_X0_I0+12+1], v[vgprLocalReadAddrB] offset:26112 // L -> Reg lro=0 swapByteOffset=0 ti=32 vIdx=6 rIdx=0 oIdx=0 buffer=0 iui=0
v_mfma_f32_16x16x16_f16 a[220+0:223+0], v[vgprValuB_X3_I0+14+0+0:vgprValuB_X3_I0+14+0+0+1], v[vgprValuA_X3_I0+12+0+0:vgprValuA_X3_I0+12+0+0+1], a[220:223]
/*  mfmaIndex:218  */
_ds_load_b64 v[vgprValuB_X0_I0+14:vgprValuB_X0_I0+14+1], v[vgprLocalReadAddrB] offset:30464 // L -> Reg lro=0 swapByteOffset=0 ti=32 vIdx=7 rIdx=0 oIdx=0 buffer=0 iui=0
v_mfma_f32_16x16x16_f16 a[216+0:219+0], v[vgprValuB_X3_I0+14+0+0:vgprValuB_X3_I0+14+0+0+1], v[vgprValuA_X3_I0+10+0+0:vgprValuA_X3_I0+10+0+0+1], a[216:219]
/*  mfmaIndex:219  */
v_mfma_f32_16x16x16_f16 a[212+0:215+0], v[vgprValuB_X3_I0+14+0+0:vgprValuB_X3_I0+14+0+0+1], v[vgprValuA_X3_I0+8+0+0:vgprValuA_X3_I0+8+0+0+1], a[212:215]
/*  mfmaIndex:220  */
	;; [unrolled: 2-line block ×5, first 2 shown]
v_mfma_f32_16x16x16_f16 a[196+0:199+0], v[vgprValuB_X3_I0+14+0+0:vgprValuB_X3_I0+14+0+0+1], v[vgprValuA_X3_I0+0+0+0:vgprValuA_X3_I0+0+0+0+1], a[196:199]
s_setprio 0                                        // store optimization


/******************************************/
/* Unrolled Loop - End 2/2 (final)        */
/******************************************/


/* closeLoop loopL finalLoop=1 tailLoop=0 */
s_sub_u32 s[sgprLoopCounterL], s[sgprLoopCounterL], 1 // dec counterL
s_cmp_eq_i32 s[sgprLoopCounterL], 0x2              // counterL==2
s_cbranch_scc0 LoopBeginL_1                        // restart LoopL
LoopEndL_evenexit_4: // unroll loop eveniter exit
s_branch LoopEndL_2                                // exit unroll loopL (and skip second exit code)
LoopEndL_oddexit_3: // unroll loop odditer exit

/* Select high bank of LDS */
LoopEndL_2:


/* Before NLL: Check VGPR.checkin for INT8 LW */


/******************************************/
/* Ord. NoGlobalLoadLoop - Begin                                      */
/******************************************/


	;; [unrolled: 1-line block ×3, first 2 shown]
/* iter 0 */

/*  grEndMfmaIndex:18, lwStartMfmaIndex:52, lwEndMfmaIndex:198  */
/*  numMfmaForLR:20, barrierMfmaIndex:203, LocalWritePerMfma:0.405 */
/*  mfmaIndex:0  */
s_waitcnt lgkmcnt(0)                               // lgkmcnt=0 vmcnt=-1wait for prior local read local write old=0, new=0 newLW=0 newLR=0
v_mfma_f32_16x16x16_f16 a[0+0:3+0], v[vgprValuB_X0_I0+0+0+0:vgprValuB_X0_I0+0+0+0+1], v[vgprValuA_X0_I0+0+0+0:vgprValuA_X0_I0+0+0+0+1], a[0:3]
/*  mfmaIndex:1  */
_ds_load_b64 v[vgprValuA_X1_I0+0:vgprValuA_X1_I0+0+1], v[vgprLocalReadAddrA] offset:32 // L -> Reg lro=16 swapByteOffset=0 ti=32 vIdx=0 rIdx=0 oIdx=0 buffer=1 iui=0

/* global read inc A loopL */
s_cmp_eq_u32 s[sgprLoopCounterL], s[sgprStaggerUIter] // Is this the wrapIter?
v_mfma_f32_16x16x16_f16 a[4+0:7+0], v[vgprValuB_X0_I0+0+0+0:vgprValuB_X0_I0+0+0+0+1], v[vgprValuA_X0_I0+2+0+0:vgprValuA_X0_I0+2+0+0+1], a[4:7]
/*  mfmaIndex:2  */
_ds_load_b64 v[vgprValuB_X1_I0+0:vgprValuB_X1_I0+0+1], v[vgprLocalReadAddrB] offset:32 // L -> Reg lro=16 swapByteOffset=0 ti=32 vIdx=0 rIdx=0 oIdx=0 buffer=1 iui=0
s_cselect_b32 s56, s[sgprWrapUA+0], s[sgprGlobalReadIncsA+0] // incLower <- ?
v_mfma_f32_16x16x16_f16 a[8+0:11+0], v[vgprValuB_X0_I0+0+0+0:vgprValuB_X0_I0+0+0+0+1], v[vgprValuA_X0_I0+4+0+0:vgprValuA_X0_I0+4+0+0+1], a[8:11]
/*  mfmaIndex:3  */
_ds_load_b64 v[vgprValuA_X1_I0+2:vgprValuA_X1_I0+2+1], v[vgprLocalReadAddrA] offset:4384 // L -> Reg lro=16 swapByteOffset=0 ti=32 vIdx=1 rIdx=0 oIdx=0 buffer=1 iui=0
s_cselect_b32 s57, s[sgprWrapUA+1], 0              // incUpper <- ?
v_mfma_f32_16x16x16_f16 a[12+0:15+0], v[vgprValuB_X0_I0+0+0+0:vgprValuB_X0_I0+0+0+0+1], v[vgprValuA_X0_I0+6+0+0:vgprValuA_X0_I0+6+0+0+1], a[12:15]
/*  mfmaIndex:4  */
_ds_load_b64 v[vgprValuA_X1_I0+4:vgprValuA_X1_I0+4+1], v[vgprLocalReadAddrA] offset:8736 // L -> Reg lro=16 swapByteOffset=0 ti=32 vIdx=2 rIdx=0 oIdx=0 buffer=1 iui=0
s_add_u32 s[sgprSrdA+0], s[sgprSrdA+0], s56        // gra SRD += inc(lower)
v_mfma_f32_16x16x16_f16 a[16+0:19+0], v[vgprValuB_X0_I0+0+0+0:vgprValuB_X0_I0+0+0+0+1], v[vgprValuA_X0_I0+8+0+0:vgprValuA_X0_I0+8+0+0+1], a[16:19]
/*  mfmaIndex:5  */
_ds_load_b64 v[vgprValuA_X1_I0+6:vgprValuA_X1_I0+6+1], v[vgprLocalReadAddrA] offset:13088 // L -> Reg lro=16 swapByteOffset=0 ti=32 vIdx=3 rIdx=0 oIdx=0 buffer=1 iui=0
s_addc_u32  s[sgprSrdA+1], s[sgprSrdA+1], s57      // gra SRD += inc(upper)
v_mfma_f32_16x16x16_f16 a[20+0:23+0], v[vgprValuB_X0_I0+0+0+0:vgprValuB_X0_I0+0+0+0+1], v[vgprValuA_X0_I0+10+0+0:vgprValuA_X0_I0+10+0+0+1], a[20:23]
/*  mfmaIndex:6  */
_ds_load_b64 v[vgprValuA_X1_I0+8:vgprValuA_X1_I0+8+1], v[vgprLocalReadAddrA] offset:17440 // L -> Reg lro=16 swapByteOffset=0 ti=32 vIdx=4 rIdx=0 oIdx=0 buffer=1 iui=0
s_sub_u32 s[sgprShadowLimitA+0], s[sgprShadowLimitA+0], s56 // limit -= inc)
v_mfma_f32_16x16x16_f16 a[24+0:27+0], v[vgprValuB_X0_I0+0+0+0:vgprValuB_X0_I0+0+0+0+1], v[vgprValuA_X0_I0+12+0+0:vgprValuA_X0_I0+12+0+0+1], a[24:27]
/*  mfmaIndex:7  */
_ds_load_b64 v[vgprValuA_X1_I0+10:vgprValuA_X1_I0+10+1], v[vgprLocalReadAddrA] offset:21792 // L -> Reg lro=16 swapByteOffset=0 ti=32 vIdx=5 rIdx=0 oIdx=0 buffer=1 iui=0
s_subb_u32 s[sgprShadowLimitA+1], s[sgprShadowLimitA+1], s57 // limit -= inc)
v_mfma_f32_16x16x16_f16 a[52+0:55+0], v[vgprValuB_X0_I0+2+0+0:vgprValuB_X0_I0+2+0+0+1], v[vgprValuA_X0_I0+12+0+0:vgprValuA_X0_I0+12+0+0+1], a[52:55]
/*  mfmaIndex:8  */
_ds_load_b64 v[vgprValuA_X1_I0+12:vgprValuA_X1_I0+12+1], v[vgprLocalReadAddrA] offset:26144 // L -> Reg lro=16 swapByteOffset=0 ti=32 vIdx=6 rIdx=0 oIdx=0 buffer=1 iui=0
s_cmp_eq_u32 s[sgprShadowLimitA+1], 0              // are we within 2^32?
v_mfma_f32_16x16x16_f16 a[48+0:51+0], v[vgprValuB_X0_I0+2+0+0:vgprValuB_X0_I0+2+0+0+1], v[vgprValuA_X0_I0+10+0+0:vgprValuA_X0_I0+10+0+0+1], a[48:51]
/*  mfmaIndex:9  */
_ds_load_b64 v[vgprValuB_X1_I0+2:vgprValuB_X1_I0+2+1], v[vgprLocalReadAddrB] offset:4384 // L -> Reg lro=16 swapByteOffset=0 ti=32 vIdx=1 rIdx=0 oIdx=0 buffer=1 iui=0
s_cselect_b32 s[sgprSrdA+2], s[sgprShadowLimitA+0], BufferLimitA // Move shadow to real if we are within 2^32
v_mfma_f32_16x16x16_f16 a[44+0:47+0], v[vgprValuB_X0_I0+2+0+0:vgprValuB_X0_I0+2+0+0+1], v[vgprValuA_X0_I0+8+0+0:vgprValuA_X0_I0+8+0+0+1], a[44:47]
/*  mfmaIndex:10  */
_ds_load_b64 v[vgprValuB_X1_I0+4:vgprValuB_X1_I0+4+1], v[vgprLocalReadAddrB] offset:8736 // L -> Reg lro=16 swapByteOffset=0 ti=32 vIdx=2 rIdx=0 oIdx=0 buffer=1 iui=0

/* global read inc B loopL */
s_cmp_eq_u32 s[sgprLoopCounterL], s[sgprStaggerUIter] // Is this the wrapIter?
v_mfma_f32_16x16x16_f16 a[40+0:43+0], v[vgprValuB_X0_I0+2+0+0:vgprValuB_X0_I0+2+0+0+1], v[vgprValuA_X0_I0+6+0+0:vgprValuA_X0_I0+6+0+0+1], a[40:43]
/*  mfmaIndex:11  */
_ds_load_b64 v[vgprValuB_X1_I0+6:vgprValuB_X1_I0+6+1], v[vgprLocalReadAddrB] offset:13088 // L -> Reg lro=16 swapByteOffset=0 ti=32 vIdx=3 rIdx=0 oIdx=0 buffer=1 iui=0
s_cselect_b32 s56, s[sgprWrapUB+0], s[sgprGlobalReadIncsB+0] // incLower <- ?
v_mfma_f32_16x16x16_f16 a[36+0:39+0], v[vgprValuB_X0_I0+2+0+0:vgprValuB_X0_I0+2+0+0+1], v[vgprValuA_X0_I0+4+0+0:vgprValuA_X0_I0+4+0+0+1], a[36:39]
/*  mfmaIndex:12  */
_ds_load_b64 v[vgprValuB_X1_I0+8:vgprValuB_X1_I0+8+1], v[vgprLocalReadAddrB] offset:17440 // L -> Reg lro=16 swapByteOffset=0 ti=32 vIdx=4 rIdx=0 oIdx=0 buffer=1 iui=0
s_cselect_b32 s57, s[sgprWrapUB+1], 0              // incUpper <- ?
v_mfma_f32_16x16x16_f16 a[32+0:35+0], v[vgprValuB_X0_I0+2+0+0:vgprValuB_X0_I0+2+0+0+1], v[vgprValuA_X0_I0+2+0+0:vgprValuA_X0_I0+2+0+0+1], a[32:35]
/*  mfmaIndex:13  */
_ds_load_b64 v[vgprValuB_X1_I0+10:vgprValuB_X1_I0+10+1], v[vgprLocalReadAddrB] offset:21792 // L -> Reg lro=16 swapByteOffset=0 ti=32 vIdx=5 rIdx=0 oIdx=0 buffer=1 iui=0
s_add_u32 s[sgprSrdB+0], s[sgprSrdB+0], s56        // gra SRD += inc(lower)
v_mfma_f32_16x16x16_f16 a[28+0:31+0], v[vgprValuB_X0_I0+2+0+0:vgprValuB_X0_I0+2+0+0+1], v[vgprValuA_X0_I0+0+0+0:vgprValuA_X0_I0+0+0+0+1], a[28:31]
/*  mfmaIndex:14  */
_ds_load_b64 v[vgprValuB_X1_I0+12:vgprValuB_X1_I0+12+1], v[vgprLocalReadAddrB] offset:26144 // L -> Reg lro=16 swapByteOffset=0 ti=32 vIdx=6 rIdx=0 oIdx=0 buffer=1 iui=0
s_addc_u32  s[sgprSrdB+1], s[sgprSrdB+1], s57      // gra SRD += inc(upper)
v_mfma_f32_16x16x16_f16 a[56+0:59+0], v[vgprValuB_X0_I0+4+0+0:vgprValuB_X0_I0+4+0+0+1], v[vgprValuA_X0_I0+0+0+0:vgprValuA_X0_I0+0+0+0+1], a[56:59]
/*  mfmaIndex:15  */
_ds_load_b64 v[vgprValuB_X1_I0+14:vgprValuB_X1_I0+14+1], v[vgprLocalReadAddrB] offset:30496 // L -> Reg lro=16 swapByteOffset=0 ti=32 vIdx=7 rIdx=0 oIdx=0 buffer=1 iui=0
s_sub_u32 s[sgprShadowLimitB+0], s[sgprShadowLimitB+0], s56 // limit -= inc)
v_mfma_f32_16x16x16_f16 a[60+0:63+0], v[vgprValuB_X0_I0+4+0+0:vgprValuB_X0_I0+4+0+0+1], v[vgprValuA_X0_I0+2+0+0:vgprValuA_X0_I0+2+0+0+1], a[60:63]
/*  mfmaIndex:16  */
/* localReadsVacancy: latencyLeft 2 */
_ds_load_b64 v[vgprValuA_X2_I0+0:vgprValuA_X2_I0+0+1], v[vgprLocalReadAddrA] offset:64 // L -> Reg lro=32 swapByteOffset=0 ti=32 vIdx=0 rIdx=0 oIdx=0 buffer=2 iui=0
s_subb_u32 s[sgprShadowLimitB+1], s[sgprShadowLimitB+1], s57 // limit -= inc)
v_mfma_f32_16x16x16_f16 a[64+0:67+0], v[vgprValuB_X0_I0+4+0+0:vgprValuB_X0_I0+4+0+0+1], v[vgprValuA_X0_I0+4+0+0:vgprValuA_X0_I0+4+0+0+1], a[64:67]
/*  mfmaIndex:17  */
/* localReadsVacancy: latencyLeft 2 */
_ds_load_b64 v[vgprValuB_X2_I0+0:vgprValuB_X2_I0+0+1], v[vgprLocalReadAddrB] offset:64 // L -> Reg lro=32 swapByteOffset=0 ti=32 vIdx=0 rIdx=0 oIdx=0 buffer=2 iui=0
s_cmp_eq_u32 s[sgprShadowLimitB+1], 0              // are we within 2^32?
v_mfma_f32_16x16x16_f16 a[68+0:71+0], v[vgprValuB_X0_I0+4+0+0:vgprValuB_X0_I0+4+0+0+1], v[vgprValuA_X0_I0+6+0+0:vgprValuA_X0_I0+6+0+0+1], a[68:71]
/*  mfmaIndex:18  */
/* localReadsVacancy: latencyLeft 2 */
_ds_load_b64 v[vgprValuA_X2_I0+2:vgprValuA_X2_I0+2+1], v[vgprLocalReadAddrA] offset:4416 // L -> Reg lro=32 swapByteOffset=0 ti=32 vIdx=1 rIdx=0 oIdx=0 buffer=2 iui=0
s_cselect_b32 s[sgprSrdB+2], s[sgprShadowLimitB+0], BufferLimitB // Move shadow to real if we are within 2^32
v_mfma_f32_16x16x16_f16 a[72+0:75+0], v[vgprValuB_X0_I0+4+0+0:vgprValuB_X0_I0+4+0+0+1], v[vgprValuA_X0_I0+8+0+0:vgprValuA_X0_I0+8+0+0+1], a[72:75]
/*  mfmaIndex:19  */
/* localReadsVacancy: latencyLeft 2 */
_ds_load_b64 v[vgprValuA_X2_I0+4:vgprValuA_X2_I0+4+1], v[vgprLocalReadAddrA] offset:8768 // L -> Reg lro=32 swapByteOffset=0 ti=32 vIdx=2 rIdx=0 oIdx=0 buffer=2 iui=0
v_mfma_f32_16x16x16_f16 a[76+0:79+0], v[vgprValuB_X0_I0+4+0+0:vgprValuB_X0_I0+4+0+0+1], v[vgprValuA_X0_I0+10+0+0:vgprValuA_X0_I0+10+0+0+1], a[76:79]
/*  mfmaIndex:20  */
/* localReadsVacancy: latencyLeft 2 */
_ds_load_b64 v[vgprValuA_X2_I0+6:vgprValuA_X2_I0+6+1], v[vgprLocalReadAddrA] offset:13120 // L -> Reg lro=32 swapByteOffset=0 ti=32 vIdx=3 rIdx=0 oIdx=0 buffer=2 iui=0
	;; [unrolled: 4-line block ×5, first 2 shown]
v_mfma_f32_16x16x16_f16 a[100+0:103+0], v[vgprValuB_X0_I0+6+0+0:vgprValuB_X0_I0+6+0+0+1], v[vgprValuA_X0_I0+8+0+0:vgprValuA_X0_I0+8+0+0+1], a[100:103]
/*  mfmaIndex:24  */
/* localReadsVacancy: latencyLeft 2 */
_ds_load_b64 v[vgprValuB_X2_I0+2:vgprValuB_X2_I0+2+1], v[vgprLocalReadAddrB] offset:4416 // L -> Reg lro=32 swapByteOffset=0 ti=32 vIdx=1 rIdx=0 oIdx=0 buffer=2 iui=0
v_mfma_f32_16x16x16_f16 a[96+0:99+0], v[vgprValuB_X0_I0+6+0+0:vgprValuB_X0_I0+6+0+0+1], v[vgprValuA_X0_I0+6+0+0:vgprValuA_X0_I0+6+0+0+1], a[96:99]
/*  mfmaIndex:25  */
/* localReadsVacancy: latencyLeft 2 */
_ds_load_b64 v[vgprValuB_X2_I0+4:vgprValuB_X2_I0+4+1], v[vgprLocalReadAddrB] offset:8768 // L -> Reg lro=32 swapByteOffset=0 ti=32 vIdx=2 rIdx=0 oIdx=0 buffer=2 iui=0
	;; [unrolled: 4-line block ×7, first 2 shown]
v_mfma_f32_16x16x16_f16 a[120+0:123+0], v[vgprValuB_X0_I0+8+0+0:vgprValuB_X0_I0+8+0+0+1], v[vgprValuA_X0_I0+4+0+0:vgprValuA_X0_I0+4+0+0+1], a[120:123]
/*  mfmaIndex:31  */
/* localReadsVacancy: latencyLeft 2 */
_ds_load_b64 v[vgprValuA_X3_I0+0:vgprValuA_X3_I0+0+1], v[vgprLocalReadAddrA] offset:96 // L -> Reg lro=48 swapByteOffset=0 ti=32 vIdx=0 rIdx=0 oIdx=0 buffer=3 iui=0
v_mfma_f32_16x16x16_f16 a[124+0:127+0], v[vgprValuB_X0_I0+8+0+0:vgprValuB_X0_I0+8+0+0+1], v[vgprValuA_X0_I0+6+0+0:vgprValuA_X0_I0+6+0+0+1], a[124:127]
/*  mfmaIndex:32  */
/* localReadsVacancy: latencyLeft 2 */
_ds_load_b64 v[vgprValuB_X3_I0+0:vgprValuB_X3_I0+0+1], v[vgprLocalReadAddrB] offset:96 // L -> Reg lro=48 swapByteOffset=0 ti=32 vIdx=0 rIdx=0 oIdx=0 buffer=3 iui=0
v_mfma_f32_16x16x16_f16 a[128+0:131+0], v[vgprValuB_X0_I0+8+0+0:vgprValuB_X0_I0+8+0+0+1], v[vgprValuA_X0_I0+8+0+0:vgprValuA_X0_I0+8+0+0+1], a[128:131]
/*  mfmaIndex:33  */
/* localReadsVacancy: latencyLeft 2 */
_ds_load_b64 v[vgprValuA_X3_I0+2:vgprValuA_X3_I0+2+1], v[vgprLocalReadAddrA] offset:4448 // L -> Reg lro=48 swapByteOffset=0 ti=32 vIdx=1 rIdx=0 oIdx=0 buffer=3 iui=0
v_mfma_f32_16x16x16_f16 a[132+0:135+0], v[vgprValuB_X0_I0+8+0+0:vgprValuB_X0_I0+8+0+0+1], v[vgprValuA_X0_I0+10+0+0:vgprValuA_X0_I0+10+0+0+1], a[132:135]
/*  mfmaIndex:34  */
/* localReadsVacancy: latencyLeft 2 */
_ds_load_b64 v[vgprValuA_X3_I0+4:vgprValuA_X3_I0+4+1], v[vgprLocalReadAddrA] offset:8800 // L -> Reg lro=48 swapByteOffset=0 ti=32 vIdx=2 rIdx=0 oIdx=0 buffer=3 iui=0
	;; [unrolled: 4-line block ×6, first 2 shown]
v_mfma_f32_16x16x16_f16 a[152+0:155+0], v[vgprValuB_X0_I0+10+0+0:vgprValuB_X0_I0+10+0+0+1], v[vgprValuA_X0_I0+6+0+0:vgprValuA_X0_I0+6+0+0+1], a[152:155]
/*  mfmaIndex:39  */
/* localReadsVacancy: latencyLeft 2 */
_ds_load_b64 v[vgprValuB_X3_I0+2:vgprValuB_X3_I0+2+1], v[vgprLocalReadAddrB] offset:4448 // L -> Reg lro=48 swapByteOffset=0 ti=32 vIdx=1 rIdx=0 oIdx=0 buffer=3 iui=0
v_mfma_f32_16x16x16_f16 a[148+0:151+0], v[vgprValuB_X0_I0+10+0+0:vgprValuB_X0_I0+10+0+0+1], v[vgprValuA_X0_I0+4+0+0:vgprValuA_X0_I0+4+0+0+1], a[148:151]
/*  mfmaIndex:40  */
/* localReadsVacancy: latencyLeft 2 */
_ds_load_b64 v[vgprValuB_X3_I0+4:vgprValuB_X3_I0+4+1], v[vgprLocalReadAddrB] offset:8800 // L -> Reg lro=48 swapByteOffset=0 ti=32 vIdx=2 rIdx=0 oIdx=0 buffer=3 iui=0
	;; [unrolled: 4-line block ×7, first 2 shown]
v_mfma_f32_16x16x16_f16 a[180+0:183+0], v[vgprValuB_X0_I0+12+0+0:vgprValuB_X0_I0+12+0+0+1], v[vgprValuA_X0_I0+6+0+0:vgprValuA_X0_I0+6+0+0+1], a[180:183]
/*  mfmaIndex:46  */
/* localReadsVacancy: latencyLeft 2 */
v_mfma_f32_16x16x16_f16 a[184+0:187+0], v[vgprValuB_X0_I0+12+0+0:vgprValuB_X0_I0+12+0+0+1], v[vgprValuA_X0_I0+8+0+0:vgprValuA_X0_I0+8+0+0+1], a[184:187]
/*  mfmaIndex:47  */
/* localReadsVacancy: latencyLeft 2 */
	;; [unrolled: 3-line block ×6, first 2 shown]
/* 1 LDS buffer: read-sync-write */
s_waitcnt lgkmcnt(0)                               // 
s_barrier                                          // 
v_mfma_f32_16x16x16_f16 a[212+0:215+0], v[vgprValuB_X0_I0+14+0+0:vgprValuB_X0_I0+14+0+0+1], v[vgprValuA_X0_I0+8+0+0:vgprValuA_X0_I0+8+0+0+1], a[212:215]
/*  mfmaIndex:52  */
s_setprio 3                                        // store optimization
/* sched write - iter 0 writesPerItem=1 */
s_waitcnt vmcnt(0)                                 // lgkmcnt=-1 vmcnt=0wait for global read before writing to local
_ds_store_b32 v[vgprLocalWriteAddrA], v[vgprG2LA+0] offset:0 // lwoA_0_0_0_0 = (0*LSCA)*(MT0I+PAD) + (0*LSPA) = 0
v_mfma_f32_16x16x16_f16 a[208+0:211+0], v[vgprValuB_X0_I0+14+0+0:vgprValuB_X0_I0+14+0+0+1], v[vgprValuA_X0_I0+6+0+0:vgprValuA_X0_I0+6+0+0+1], a[208:211]
/*  mfmaIndex:53  */
v_mfma_f32_16x16x16_f16 a[204+0:207+0], v[vgprValuB_X0_I0+14+0+0:vgprValuB_X0_I0+14+0+0+1], v[vgprValuA_X0_I0+4+0+0:vgprValuA_X0_I0+4+0+0+1], a[204:207]
/*  mfmaIndex:54  */
/* sched write - iter 0 writesPerItem=1 */
s_waitcnt vmcnt(0)                                 // lgkmcnt=-1 vmcnt=0wait for global read before writing to local
_ds_store_b32 v[vgprLocalWriteAddrA], v[vgprG2LA+1] offset:1088 // lwoA_0_0_1_0 = (0*LSCA)*(MT0I+PAD) + (1*LSPA) = 1088
v_mfma_f32_16x16x16_f16 a[200+0:203+0], v[vgprValuB_X0_I0+14+0+0:vgprValuB_X0_I0+14+0+0+1], v[vgprValuA_X0_I0+2+0+0:vgprValuA_X0_I0+2+0+0+1], a[200:203]
/*  mfmaIndex:55  */
v_mfma_f32_16x16x16_f16 a[196+0:199+0], v[vgprValuB_X0_I0+14+0+0:vgprValuB_X0_I0+14+0+0+1], v[vgprValuA_X0_I0+0+0+0:vgprValuA_X0_I0+0+0+0+1], a[196:199]
/* numPrefetchIter=0 */
/* dataAtIterA=-1 numReadsIterA=1 skipReadsIterA=1 readsPerIterA=7 */
/* dataAtIterB=-1 numReadsIterB=1 skipReadsIterB=1 readsPerIterB=8 */


/* iter 1 */

/*  grEndMfmaIndex:18, lwStartMfmaIndex:52, lwEndMfmaIndex:198  */
/*  numMfmaForLR:20, barrierMfmaIndex:203, LocalWritePerMfma:0.405 */
/*  mfmaIndex:56  */
/* sched write - iter 1 writesPerItem=1 */
s_waitcnt vmcnt(0)                                 // lgkmcnt=-1 vmcnt=0wait for global read before writing to local
_ds_store_b32 v[vgprLocalWriteAddrA], v[vgprG2LA+2] offset:2176 // lwoA_0_0_2_0 = (0*LSCA)*(MT0I+PAD) + (2*LSPA) = 2176
v_mfma_f32_16x16x16_f16 a[0+0:3+0], v[vgprValuB_X1_I0+0+0+0:vgprValuB_X1_I0+0+0+0+1], v[vgprValuA_X1_I0+0+0+0:vgprValuA_X1_I0+0+0+0+1], a[0:3]
/*  mfmaIndex:57  */
v_mfma_f32_16x16x16_f16 a[4+0:7+0], v[vgprValuB_X1_I0+0+0+0:vgprValuB_X1_I0+0+0+0+1], v[vgprValuA_X1_I0+2+0+0:vgprValuA_X1_I0+2+0+0+1], a[4:7]
/*  mfmaIndex:58  */
	;; [unrolled: 2-line block ×3, first 2 shown]
/* sched write - iter 1 writesPerItem=1 */
s_waitcnt vmcnt(0)                                 // lgkmcnt=-1 vmcnt=0wait for global read before writing to local
_ds_store_b32 v[vgprLocalWriteAddrA], v[vgprG2LA+3] offset:3264 // lwoA_0_0_3_0 = (0*LSCA)*(MT0I+PAD) + (3*LSPA) = 3264
v_mfma_f32_16x16x16_f16 a[12+0:15+0], v[vgprValuB_X1_I0+0+0+0:vgprValuB_X1_I0+0+0+0+1], v[vgprValuA_X1_I0+6+0+0:vgprValuA_X1_I0+6+0+0+1], a[12:15]
/*  mfmaIndex:60  */
v_mfma_f32_16x16x16_f16 a[16+0:19+0], v[vgprValuB_X1_I0+0+0+0:vgprValuB_X1_I0+0+0+0+1], v[vgprValuA_X1_I0+8+0+0:vgprValuA_X1_I0+8+0+0+1], a[16:19]
/*  mfmaIndex:61  */
/* sched write - iter 1 writesPerItem=1 */
s_waitcnt vmcnt(0)                                 // lgkmcnt=-1 vmcnt=0wait for global read before writing to local
_ds_store_b32 v[vgprLocalWriteAddrA], v[vgprG2LA+4] offset:4352 // lwoA_0_0_4_0 = (0*LSCA)*(MT0I+PAD) + (4*LSPA) = 4352
v_mfma_f32_16x16x16_f16 a[20+0:23+0], v[vgprValuB_X1_I0+0+0+0:vgprValuB_X1_I0+0+0+0+1], v[vgprValuA_X1_I0+10+0+0:vgprValuA_X1_I0+10+0+0+1], a[20:23]
/*  mfmaIndex:62  */
v_mfma_f32_16x16x16_f16 a[24+0:27+0], v[vgprValuB_X1_I0+0+0+0:vgprValuB_X1_I0+0+0+0+1], v[vgprValuA_X1_I0+12+0+0:vgprValuA_X1_I0+12+0+0+1], a[24:27]
/*  mfmaIndex:63  */
	;; [unrolled: 2-line block ×3, first 2 shown]
/* sched write - iter 1 writesPerItem=1 */
s_waitcnt vmcnt(0)                                 // lgkmcnt=-1 vmcnt=0wait for global read before writing to local
_ds_store_b32 v[vgprLocalWriteAddrA], v[vgprG2LA+5] offset:5440 // lwoA_0_0_5_0 = (0*LSCA)*(MT0I+PAD) + (5*LSPA) = 5440
v_mfma_f32_16x16x16_f16 a[48+0:51+0], v[vgprValuB_X1_I0+2+0+0:vgprValuB_X1_I0+2+0+0+1], v[vgprValuA_X1_I0+10+0+0:vgprValuA_X1_I0+10+0+0+1], a[48:51]
/*  mfmaIndex:65  */
v_mfma_f32_16x16x16_f16 a[44+0:47+0], v[vgprValuB_X1_I0+2+0+0:vgprValuB_X1_I0+2+0+0+1], v[vgprValuA_X1_I0+8+0+0:vgprValuA_X1_I0+8+0+0+1], a[44:47]
/*  mfmaIndex:66  */
/* sched write - iter 1 writesPerItem=1 */
s_waitcnt vmcnt(0)                                 // lgkmcnt=-1 vmcnt=0wait for global read before writing to local
_ds_store_b32 v[vgprLocalWriteAddrA], v[vgprG2LA+6] offset:6528 // lwoA_0_0_6_0 = (0*LSCA)*(MT0I+PAD) + (6*LSPA) = 6528
v_mfma_f32_16x16x16_f16 a[40+0:43+0], v[vgprValuB_X1_I0+2+0+0:vgprValuB_X1_I0+2+0+0+1], v[vgprValuA_X1_I0+6+0+0:vgprValuA_X1_I0+6+0+0+1], a[40:43]
/*  mfmaIndex:67  */
v_mfma_f32_16x16x16_f16 a[36+0:39+0], v[vgprValuB_X1_I0+2+0+0:vgprValuB_X1_I0+2+0+0+1], v[vgprValuA_X1_I0+4+0+0:vgprValuA_X1_I0+4+0+0+1], a[36:39]
/*  mfmaIndex:68  */
	;; [unrolled: 2-line block ×3, first 2 shown]
/* sched write - iter 1 writesPerItem=1 */
s_waitcnt vmcnt(0)                                 // lgkmcnt=-1 vmcnt=0wait for global read before writing to local
_ds_store_b32 v[vgprLocalWriteAddrA], v[vgprG2LA+7] offset:7616 // lwoA_0_0_7_0 = (0*LSCA)*(MT0I+PAD) + (7*LSPA) = 7616
v_mfma_f32_16x16x16_f16 a[28+0:31+0], v[vgprValuB_X1_I0+2+0+0:vgprValuB_X1_I0+2+0+0+1], v[vgprValuA_X1_I0+0+0+0:vgprValuA_X1_I0+0+0+0+1], a[28:31]
/*  mfmaIndex:70  */
v_mfma_f32_16x16x16_f16 a[56+0:59+0], v[vgprValuB_X1_I0+4+0+0:vgprValuB_X1_I0+4+0+0+1], v[vgprValuA_X1_I0+0+0+0:vgprValuA_X1_I0+0+0+0+1], a[56:59]
/*  mfmaIndex:71  */
/* sched write - iter 1 writesPerItem=1 */
s_waitcnt vmcnt(0)                                 // lgkmcnt=-1 vmcnt=0wait for global read before writing to local
_ds_store_b32 v[vgprLocalWriteAddrA], v[vgprG2LA+8] offset:8704 // lwoA_0_0_8_0 = (0*LSCA)*(MT0I+PAD) + (8*LSPA) = 8704
v_mfma_f32_16x16x16_f16 a[60+0:63+0], v[vgprValuB_X1_I0+4+0+0:vgprValuB_X1_I0+4+0+0+1], v[vgprValuA_X1_I0+2+0+0:vgprValuA_X1_I0+2+0+0+1], a[60:63]
/*  mfmaIndex:72  */
v_mfma_f32_16x16x16_f16 a[64+0:67+0], v[vgprValuB_X1_I0+4+0+0:vgprValuB_X1_I0+4+0+0+1], v[vgprValuA_X1_I0+4+0+0:vgprValuA_X1_I0+4+0+0+1], a[64:67]
/*  mfmaIndex:73  */
	;; [unrolled: 2-line block ×3, first 2 shown]
/* sched write - iter 1 writesPerItem=1 */
s_waitcnt vmcnt(0)                                 // lgkmcnt=-1 vmcnt=0wait for global read before writing to local
_ds_store_b32 v[vgprLocalWriteAddrA], v[vgprG2LA+9] offset:9792 // lwoA_0_0_9_0 = (0*LSCA)*(MT0I+PAD) + (9*LSPA) = 9792
v_mfma_f32_16x16x16_f16 a[72+0:75+0], v[vgprValuB_X1_I0+4+0+0:vgprValuB_X1_I0+4+0+0+1], v[vgprValuA_X1_I0+8+0+0:vgprValuA_X1_I0+8+0+0+1], a[72:75]
/*  mfmaIndex:75  */
v_mfma_f32_16x16x16_f16 a[76+0:79+0], v[vgprValuB_X1_I0+4+0+0:vgprValuB_X1_I0+4+0+0+1], v[vgprValuA_X1_I0+10+0+0:vgprValuA_X1_I0+10+0+0+1], a[76:79]
/*  mfmaIndex:76  */
/* sched write - iter 1 writesPerItem=1 */
s_waitcnt vmcnt(0)                                 // lgkmcnt=-1 vmcnt=0wait for global read before writing to local
_ds_store_b32 v[vgprLocalWriteAddrA], v[vgprG2LA+10] offset:10880 // lwoA_0_0_10_0 = (0*LSCA)*(MT0I+PAD) + (10*LSPA) = 10880
v_mfma_f32_16x16x16_f16 a[80+0:83+0], v[vgprValuB_X1_I0+4+0+0:vgprValuB_X1_I0+4+0+0+1], v[vgprValuA_X1_I0+12+0+0:vgprValuA_X1_I0+12+0+0+1], a[80:83]
/*  mfmaIndex:77  */
v_mfma_f32_16x16x16_f16 a[108+0:111+0], v[vgprValuB_X1_I0+6+0+0:vgprValuB_X1_I0+6+0+0+1], v[vgprValuA_X1_I0+12+0+0:vgprValuA_X1_I0+12+0+0+1], a[108:111]
/*  mfmaIndex:78  */
v_mfma_f32_16x16x16_f16 a[104+0:107+0], v[vgprValuB_X1_I0+6+0+0:vgprValuB_X1_I0+6+0+0+1], v[vgprValuA_X1_I0+10+0+0:vgprValuA_X1_I0+10+0+0+1], a[104:107]
/*  mfmaIndex:79  */
/* sched write - iter 1 writesPerItem=1 */
s_waitcnt vmcnt(0)                                 // lgkmcnt=-1 vmcnt=0wait for global read before writing to local
_ds_store_b32 v[vgprLocalWriteAddrA], v[vgprG2LA+11] offset:11968 // lwoA_0_0_11_0 = (0*LSCA)*(MT0I+PAD) + (11*LSPA) = 11968
v_mfma_f32_16x16x16_f16 a[100+0:103+0], v[vgprValuB_X1_I0+6+0+0:vgprValuB_X1_I0+6+0+0+1], v[vgprValuA_X1_I0+8+0+0:vgprValuA_X1_I0+8+0+0+1], a[100:103]
/*  mfmaIndex:80  */
v_mfma_f32_16x16x16_f16 a[96+0:99+0], v[vgprValuB_X1_I0+6+0+0:vgprValuB_X1_I0+6+0+0+1], v[vgprValuA_X1_I0+6+0+0:vgprValuA_X1_I0+6+0+0+1], a[96:99]
/*  mfmaIndex:81  */
/* sched write - iter 1 writesPerItem=1 */
s_waitcnt vmcnt(0)                                 // lgkmcnt=-1 vmcnt=0wait for global read before writing to local
_ds_store_b32 v[vgprLocalWriteAddrA], v[vgprG2LA+12] offset:13056 // lwoA_0_0_12_0 = (0*LSCA)*(MT0I+PAD) + (12*LSPA) = 13056
v_mfma_f32_16x16x16_f16 a[92+0:95+0], v[vgprValuB_X1_I0+6+0+0:vgprValuB_X1_I0+6+0+0+1], v[vgprValuA_X1_I0+4+0+0:vgprValuA_X1_I0+4+0+0+1], a[92:95]
/*  mfmaIndex:82  */
v_mfma_f32_16x16x16_f16 a[88+0:91+0], v[vgprValuB_X1_I0+6+0+0:vgprValuB_X1_I0+6+0+0+1], v[vgprValuA_X1_I0+2+0+0:vgprValuA_X1_I0+2+0+0+1], a[88:91]
/*  mfmaIndex:83  */
	;; [unrolled: 2-line block ×3, first 2 shown]
/* sched write - iter 1 writesPerItem=1 */
s_waitcnt vmcnt(0)                                 // lgkmcnt=-1 vmcnt=0wait for global read before writing to local
_ds_store_b32 v[vgprLocalWriteAddrA], v[vgprG2LA+13] offset:14144 // lwoA_0_0_13_0 = (0*LSCA)*(MT0I+PAD) + (13*LSPA) = 14144
v_mfma_f32_16x16x16_f16 a[112+0:115+0], v[vgprValuB_X1_I0+8+0+0:vgprValuB_X1_I0+8+0+0+1], v[vgprValuA_X1_I0+0+0+0:vgprValuA_X1_I0+0+0+0+1], a[112:115]
/*  mfmaIndex:85  */
v_mfma_f32_16x16x16_f16 a[116+0:119+0], v[vgprValuB_X1_I0+8+0+0:vgprValuB_X1_I0+8+0+0+1], v[vgprValuA_X1_I0+2+0+0:vgprValuA_X1_I0+2+0+0+1], a[116:119]
/*  mfmaIndex:86  */
/* sched write - iter 1 writesPerItem=1 */
s_waitcnt vmcnt(0)                                 // lgkmcnt=-1 vmcnt=0wait for global read before writing to local
_ds_store_b32 v[vgprLocalWriteAddrA], v[vgprG2LA+14] offset:15232 // lwoA_0_0_14_0 = (0*LSCA)*(MT0I+PAD) + (14*LSPA) = 15232
v_mfma_f32_16x16x16_f16 a[120+0:123+0], v[vgprValuB_X1_I0+8+0+0:vgprValuB_X1_I0+8+0+0+1], v[vgprValuA_X1_I0+4+0+0:vgprValuA_X1_I0+4+0+0+1], a[120:123]
/*  mfmaIndex:87  */
v_mfma_f32_16x16x16_f16 a[124+0:127+0], v[vgprValuB_X1_I0+8+0+0:vgprValuB_X1_I0+8+0+0+1], v[vgprValuA_X1_I0+6+0+0:vgprValuA_X1_I0+6+0+0+1], a[124:127]
/*  mfmaIndex:88  */
	;; [unrolled: 2-line block ×3, first 2 shown]
/* sched write - iter 1 writesPerItem=1 */
s_waitcnt vmcnt(0)                                 // lgkmcnt=-1 vmcnt=0wait for global read before writing to local
_ds_store_b32 v[vgprLocalWriteAddrA], v[vgprG2LA+15] offset:16320 // lwoA_0_0_15_0 = (0*LSCA)*(MT0I+PAD) + (15*LSPA) = 16320
v_mfma_f32_16x16x16_f16 a[132+0:135+0], v[vgprValuB_X1_I0+8+0+0:vgprValuB_X1_I0+8+0+0+1], v[vgprValuA_X1_I0+10+0+0:vgprValuA_X1_I0+10+0+0+1], a[132:135]
/*  mfmaIndex:90  */
v_mfma_f32_16x16x16_f16 a[136+0:139+0], v[vgprValuB_X1_I0+8+0+0:vgprValuB_X1_I0+8+0+0+1], v[vgprValuA_X1_I0+12+0+0:vgprValuA_X1_I0+12+0+0+1], a[136:139]
/*  mfmaIndex:91  */
/* sched write - iter 1 writesPerItem=1 */
s_waitcnt vmcnt(0)                                 // lgkmcnt=-1 vmcnt=0wait for global read before writing to local
_ds_store_b32 v[vgprLocalWriteAddrA], v[vgprG2LA+16] offset:17408 // lwoA_0_0_16_0 = (0*LSCA)*(MT0I+PAD) + (16*LSPA) = 17408
v_mfma_f32_16x16x16_f16 a[164+0:167+0], v[vgprValuB_X1_I0+10+0+0:vgprValuB_X1_I0+10+0+0+1], v[vgprValuA_X1_I0+12+0+0:vgprValuA_X1_I0+12+0+0+1], a[164:167]
/*  mfmaIndex:92  */
v_mfma_f32_16x16x16_f16 a[160+0:163+0], v[vgprValuB_X1_I0+10+0+0:vgprValuB_X1_I0+10+0+0+1], v[vgprValuA_X1_I0+10+0+0:vgprValuA_X1_I0+10+0+0+1], a[160:163]
/*  mfmaIndex:93  */
/* sched write - iter 1 writesPerItem=1 */
s_waitcnt vmcnt(0)                                 // lgkmcnt=-1 vmcnt=0wait for global read before writing to local
_ds_store_b32 v[vgprLocalWriteAddrA], v[vgprG2LA+17] offset:18496 // lwoA_0_0_17_0 = (0*LSCA)*(MT0I+PAD) + (17*LSPA) = 18496
v_mfma_f32_16x16x16_f16 a[156+0:159+0], v[vgprValuB_X1_I0+10+0+0:vgprValuB_X1_I0+10+0+0+1], v[vgprValuA_X1_I0+8+0+0:vgprValuA_X1_I0+8+0+0+1], a[156:159]
/*  mfmaIndex:94  */
v_mfma_f32_16x16x16_f16 a[152+0:155+0], v[vgprValuB_X1_I0+10+0+0:vgprValuB_X1_I0+10+0+0+1], v[vgprValuA_X1_I0+6+0+0:vgprValuA_X1_I0+6+0+0+1], a[152:155]
/*  mfmaIndex:95  */
	;; [unrolled: 2-line block ×3, first 2 shown]
/* sched write - iter 1 writesPerItem=1 */
s_waitcnt vmcnt(0)                                 // lgkmcnt=-1 vmcnt=0wait for global read before writing to local
_ds_store_b32 v[vgprLocalWriteAddrA], v[vgprG2LA+18] offset:19584 // lwoA_0_0_18_0 = (0*LSCA)*(MT0I+PAD) + (18*LSPA) = 19584
v_mfma_f32_16x16x16_f16 a[144+0:147+0], v[vgprValuB_X1_I0+10+0+0:vgprValuB_X1_I0+10+0+0+1], v[vgprValuA_X1_I0+2+0+0:vgprValuA_X1_I0+2+0+0+1], a[144:147]
/*  mfmaIndex:97  */
v_mfma_f32_16x16x16_f16 a[140+0:143+0], v[vgprValuB_X1_I0+10+0+0:vgprValuB_X1_I0+10+0+0+1], v[vgprValuA_X1_I0+0+0+0:vgprValuA_X1_I0+0+0+0+1], a[140:143]
/*  mfmaIndex:98  */
/* sched write - iter 1 writesPerItem=1 */
s_waitcnt vmcnt(0)                                 // lgkmcnt=-1 vmcnt=0wait for global read before writing to local
_ds_store_b32 v[vgprLocalWriteAddrA], v[vgprG2LA+19] offset:20672 // lwoA_0_0_19_0 = (0*LSCA)*(MT0I+PAD) + (19*LSPA) = 20672
v_mfma_f32_16x16x16_f16 a[168+0:171+0], v[vgprValuB_X1_I0+12+0+0:vgprValuB_X1_I0+12+0+0+1], v[vgprValuA_X1_I0+0+0+0:vgprValuA_X1_I0+0+0+0+1], a[168:171]
/*  mfmaIndex:99  */
v_mfma_f32_16x16x16_f16 a[172+0:175+0], v[vgprValuB_X1_I0+12+0+0:vgprValuB_X1_I0+12+0+0+1], v[vgprValuA_X1_I0+2+0+0:vgprValuA_X1_I0+2+0+0+1], a[172:175]
/*  mfmaIndex:100  */
	;; [unrolled: 2-line block ×3, first 2 shown]
/* sched write - iter 1 writesPerItem=1 */
s_waitcnt vmcnt(0)                                 // lgkmcnt=-1 vmcnt=0wait for global read before writing to local
_ds_store_b32 v[vgprLocalWriteAddrA], v[vgprG2LA+20] offset:21760 // lwoA_0_0_20_0 = (0*LSCA)*(MT0I+PAD) + (20*LSPA) = 21760
v_mfma_f32_16x16x16_f16 a[180+0:183+0], v[vgprValuB_X1_I0+12+0+0:vgprValuB_X1_I0+12+0+0+1], v[vgprValuA_X1_I0+6+0+0:vgprValuA_X1_I0+6+0+0+1], a[180:183]
/*  mfmaIndex:102  */
v_mfma_f32_16x16x16_f16 a[184+0:187+0], v[vgprValuB_X1_I0+12+0+0:vgprValuB_X1_I0+12+0+0+1], v[vgprValuA_X1_I0+8+0+0:vgprValuA_X1_I0+8+0+0+1], a[184:187]
/*  mfmaIndex:103  */
/* sched write - iter 1 writesPerItem=1 */
s_waitcnt vmcnt(0)                                 // lgkmcnt=-1 vmcnt=0wait for global read before writing to local
_ds_store_b32 v[vgprLocalWriteAddrA], v[vgprG2LA+21] offset:22848 // lwoA_0_0_21_0 = (0*LSCA)*(MT0I+PAD) + (21*LSPA) = 22848
v_mfma_f32_16x16x16_f16 a[188+0:191+0], v[vgprValuB_X1_I0+12+0+0:vgprValuB_X1_I0+12+0+0+1], v[vgprValuA_X1_I0+10+0+0:vgprValuA_X1_I0+10+0+0+1], a[188:191]
/*  mfmaIndex:104  */
v_mfma_f32_16x16x16_f16 a[192+0:195+0], v[vgprValuB_X1_I0+12+0+0:vgprValuB_X1_I0+12+0+0+1], v[vgprValuA_X1_I0+12+0+0:vgprValuA_X1_I0+12+0+0+1], a[192:195]
/*  mfmaIndex:105  */
	;; [unrolled: 2-line block ×3, first 2 shown]
/* sched write - iter 1 writesPerItem=1 */
s_waitcnt vmcnt(0)                                 // lgkmcnt=-1 vmcnt=0wait for global read before writing to local
_ds_store_b32 v[vgprLocalWriteAddrA], v[vgprG2LA+22] offset:23936 // lwoA_0_0_22_0 = (0*LSCA)*(MT0I+PAD) + (22*LSPA) = 23936
v_mfma_f32_16x16x16_f16 a[216+0:219+0], v[vgprValuB_X1_I0+14+0+0:vgprValuB_X1_I0+14+0+0+1], v[vgprValuA_X1_I0+10+0+0:vgprValuA_X1_I0+10+0+0+1], a[216:219]
/*  mfmaIndex:107  */
v_mfma_f32_16x16x16_f16 a[212+0:215+0], v[vgprValuB_X1_I0+14+0+0:vgprValuB_X1_I0+14+0+0+1], v[vgprValuA_X1_I0+8+0+0:vgprValuA_X1_I0+8+0+0+1], a[212:215]
/*  mfmaIndex:108  */
/* sched write - iter 1 writesPerItem=1 */
s_waitcnt vmcnt(0)                                 // lgkmcnt=-1 vmcnt=0wait for global read before writing to local
_ds_store_b32 v[vgprLocalWriteAddrA], v[vgprG2LA+23] offset:25024 // lwoA_0_0_23_0 = (0*LSCA)*(MT0I+PAD) + (23*LSPA) = 25024
v_mfma_f32_16x16x16_f16 a[208+0:211+0], v[vgprValuB_X1_I0+14+0+0:vgprValuB_X1_I0+14+0+0+1], v[vgprValuA_X1_I0+6+0+0:vgprValuA_X1_I0+6+0+0+1], a[208:211]
/*  mfmaIndex:109  */
v_mfma_f32_16x16x16_f16 a[204+0:207+0], v[vgprValuB_X1_I0+14+0+0:vgprValuB_X1_I0+14+0+0+1], v[vgprValuA_X1_I0+4+0+0:vgprValuA_X1_I0+4+0+0+1], a[204:207]
/*  mfmaIndex:110  */
	;; [unrolled: 2-line block ×3, first 2 shown]
/* sched write - iter 1 writesPerItem=1 */
s_waitcnt vmcnt(0)                                 // lgkmcnt=-1 vmcnt=0wait for global read before writing to local
_ds_store_b32 v[vgprLocalWriteAddrA], v[vgprG2LA+24] offset:26112 // lwoA_0_0_24_0 = (0*LSCA)*(MT0I+PAD) + (24*LSPA) = 26112
v_mfma_f32_16x16x16_f16 a[196+0:199+0], v[vgprValuB_X1_I0+14+0+0:vgprValuB_X1_I0+14+0+0+1], v[vgprValuA_X1_I0+0+0+0:vgprValuA_X1_I0+0+0+0+1], a[196:199]


/* iter 2 (reset local read pointers iteration)  (swap local read pointers iteration)  */

/*  grEndMfmaIndex:18, lwStartMfmaIndex:52, lwEndMfmaIndex:198  */
/*  numMfmaForLR:20, barrierMfmaIndex:203, LocalWritePerMfma:0.405 */
/*  mfmaIndex:112  */
v_mfma_f32_16x16x16_f16 a[0+0:3+0], v[vgprValuB_X2_I0+0+0+0:vgprValuB_X2_I0+0+0+0+1], v[vgprValuA_X2_I0+0+0+0:vgprValuA_X2_I0+0+0+0+1], a[0:3]
/*  mfmaIndex:113  */
/* sched write - iter 2 writesPerItem=1 */
s_waitcnt vmcnt(0)                                 // lgkmcnt=-1 vmcnt=0wait for global read before writing to local
_ds_store_b32 v[vgprLocalWriteAddrA], v[vgprG2LA+25] offset:27200 // lwoA_0_0_25_0 = (0*LSCA)*(MT0I+PAD) + (25*LSPA) = 27200
v_mfma_f32_16x16x16_f16 a[4+0:7+0], v[vgprValuB_X2_I0+0+0+0:vgprValuB_X2_I0+0+0+0+1], v[vgprValuA_X2_I0+2+0+0:vgprValuA_X2_I0+2+0+0+1], a[4:7]
/*  mfmaIndex:114  */
v_mfma_f32_16x16x16_f16 a[8+0:11+0], v[vgprValuB_X2_I0+0+0+0:vgprValuB_X2_I0+0+0+0+1], v[vgprValuA_X2_I0+4+0+0:vgprValuA_X2_I0+4+0+0+1], a[8:11]
/*  mfmaIndex:115  */
	;; [unrolled: 2-line block ×3, first 2 shown]
/* sched write - iter 2 writesPerItem=1 */
s_waitcnt vmcnt(0)                                 // lgkmcnt=-1 vmcnt=0wait for global read before writing to local
_ds_store_b32 v[vgprLocalWriteAddrA], v[vgprG2LA+26] offset:28288 // lwoA_0_0_26_0 = (0*LSCA)*(MT0I+PAD) + (26*LSPA) = 28288
v_mfma_f32_16x16x16_f16 a[16+0:19+0], v[vgprValuB_X2_I0+0+0+0:vgprValuB_X2_I0+0+0+0+1], v[vgprValuA_X2_I0+8+0+0:vgprValuA_X2_I0+8+0+0+1], a[16:19]
/*  mfmaIndex:117  */
v_mfma_f32_16x16x16_f16 a[20+0:23+0], v[vgprValuB_X2_I0+0+0+0:vgprValuB_X2_I0+0+0+0+1], v[vgprValuA_X2_I0+10+0+0:vgprValuA_X2_I0+10+0+0+1], a[20:23]
/*  mfmaIndex:118  */
/* sched write - iter 2 writesPerItem=1 */
s_waitcnt vmcnt(0)                                 // lgkmcnt=-1 vmcnt=0wait for global read before writing to local
_ds_store_b32 v[vgprLocalWriteAddrA], v[vgprG2LA+27] offset:29376 // lwoA_0_0_27_0 = (0*LSCA)*(MT0I+PAD) + (27*LSPA) = 29376
v_mfma_f32_16x16x16_f16 a[24+0:27+0], v[vgprValuB_X2_I0+0+0+0:vgprValuB_X2_I0+0+0+0+1], v[vgprValuA_X2_I0+12+0+0:vgprValuA_X2_I0+12+0+0+1], a[24:27]
/*  mfmaIndex:119  */
v_mfma_f32_16x16x16_f16 a[52+0:55+0], v[vgprValuB_X2_I0+2+0+0:vgprValuB_X2_I0+2+0+0+1], v[vgprValuA_X2_I0+12+0+0:vgprValuA_X2_I0+12+0+0+1], a[52:55]
/*  mfmaIndex:120  */
	;; [unrolled: 2-line block ×3, first 2 shown]
/* sched write - iter 2 writesPerItem=1 */
s_waitcnt vmcnt(0)                                 // lgkmcnt=-1 vmcnt=0wait for global read before writing to local
_ds_store_b32 v[vgprLocalWriteAddrB], v[vgprG2LB+0] offset:0 // lwoB_0_0_0_0 = (0*LSCB)*(MT1J+PAD) + (0*LSPB) = 0
v_mfma_f32_16x16x16_f16 a[44+0:47+0], v[vgprValuB_X2_I0+2+0+0:vgprValuB_X2_I0+2+0+0+1], v[vgprValuA_X2_I0+8+0+0:vgprValuA_X2_I0+8+0+0+1], a[44:47]
/*  mfmaIndex:122  */
v_mfma_f32_16x16x16_f16 a[40+0:43+0], v[vgprValuB_X2_I0+2+0+0:vgprValuB_X2_I0+2+0+0+1], v[vgprValuA_X2_I0+6+0+0:vgprValuA_X2_I0+6+0+0+1], a[40:43]
/*  mfmaIndex:123  */
/* sched write - iter 2 writesPerItem=1 */
s_waitcnt vmcnt(0)                                 // lgkmcnt=-1 vmcnt=0wait for global read before writing to local
_ds_store_b32 v[vgprLocalWriteAddrB], v[vgprG2LB+1] offset:1088 // lwoB_0_0_1_0 = (0*LSCB)*(MT1J+PAD) + (1*LSPB) = 1088
v_mfma_f32_16x16x16_f16 a[36+0:39+0], v[vgprValuB_X2_I0+2+0+0:vgprValuB_X2_I0+2+0+0+1], v[vgprValuA_X2_I0+4+0+0:vgprValuA_X2_I0+4+0+0+1], a[36:39]
/*  mfmaIndex:124  */
v_mfma_f32_16x16x16_f16 a[32+0:35+0], v[vgprValuB_X2_I0+2+0+0:vgprValuB_X2_I0+2+0+0+1], v[vgprValuA_X2_I0+2+0+0:vgprValuA_X2_I0+2+0+0+1], a[32:35]
/*  mfmaIndex:125  */
	;; [unrolled: 2-line block ×3, first 2 shown]
/* sched write - iter 2 writesPerItem=1 */
s_waitcnt vmcnt(0)                                 // lgkmcnt=-1 vmcnt=0wait for global read before writing to local
_ds_store_b32 v[vgprLocalWriteAddrB], v[vgprG2LB+2] offset:2176 // lwoB_0_0_2_0 = (0*LSCB)*(MT1J+PAD) + (2*LSPB) = 2176
v_mfma_f32_16x16x16_f16 a[56+0:59+0], v[vgprValuB_X2_I0+4+0+0:vgprValuB_X2_I0+4+0+0+1], v[vgprValuA_X2_I0+0+0+0:vgprValuA_X2_I0+0+0+0+1], a[56:59]
/*  mfmaIndex:127  */
v_mfma_f32_16x16x16_f16 a[60+0:63+0], v[vgprValuB_X2_I0+4+0+0:vgprValuB_X2_I0+4+0+0+1], v[vgprValuA_X2_I0+2+0+0:vgprValuA_X2_I0+2+0+0+1], a[60:63]
/*  mfmaIndex:128  */
/* sched write - iter 2 writesPerItem=1 */
s_waitcnt vmcnt(0)                                 // lgkmcnt=-1 vmcnt=0wait for global read before writing to local
_ds_store_b32 v[vgprLocalWriteAddrB], v[vgprG2LB+3] offset:3264 // lwoB_0_0_3_0 = (0*LSCB)*(MT1J+PAD) + (3*LSPB) = 3264
v_mfma_f32_16x16x16_f16 a[64+0:67+0], v[vgprValuB_X2_I0+4+0+0:vgprValuB_X2_I0+4+0+0+1], v[vgprValuA_X2_I0+4+0+0:vgprValuA_X2_I0+4+0+0+1], a[64:67]
/*  mfmaIndex:129  */
v_mfma_f32_16x16x16_f16 a[68+0:71+0], v[vgprValuB_X2_I0+4+0+0:vgprValuB_X2_I0+4+0+0+1], v[vgprValuA_X2_I0+6+0+0:vgprValuA_X2_I0+6+0+0+1], a[68:71]
/*  mfmaIndex:130  */
	;; [unrolled: 2-line block ×3, first 2 shown]
/* sched write - iter 2 writesPerItem=1 */
s_waitcnt vmcnt(0)                                 // lgkmcnt=-1 vmcnt=0wait for global read before writing to local
_ds_store_b32 v[vgprLocalWriteAddrB], v[vgprG2LB+4] offset:4352 // lwoB_0_0_4_0 = (0*LSCB)*(MT1J+PAD) + (4*LSPB) = 4352
v_mfma_f32_16x16x16_f16 a[76+0:79+0], v[vgprValuB_X2_I0+4+0+0:vgprValuB_X2_I0+4+0+0+1], v[vgprValuA_X2_I0+10+0+0:vgprValuA_X2_I0+10+0+0+1], a[76:79]
/*  mfmaIndex:132  */
v_mfma_f32_16x16x16_f16 a[80+0:83+0], v[vgprValuB_X2_I0+4+0+0:vgprValuB_X2_I0+4+0+0+1], v[vgprValuA_X2_I0+12+0+0:vgprValuA_X2_I0+12+0+0+1], a[80:83]
/*  mfmaIndex:133  */
/* sched write - iter 2 writesPerItem=1 */
s_waitcnt vmcnt(0)                                 // lgkmcnt=-1 vmcnt=0wait for global read before writing to local
_ds_store_b32 v[vgprLocalWriteAddrB], v[vgprG2LB+5] offset:5440 // lwoB_0_0_5_0 = (0*LSCB)*(MT1J+PAD) + (5*LSPB) = 5440
v_mfma_f32_16x16x16_f16 a[108+0:111+0], v[vgprValuB_X2_I0+6+0+0:vgprValuB_X2_I0+6+0+0+1], v[vgprValuA_X2_I0+12+0+0:vgprValuA_X2_I0+12+0+0+1], a[108:111]
/*  mfmaIndex:134  */
v_mfma_f32_16x16x16_f16 a[104+0:107+0], v[vgprValuB_X2_I0+6+0+0:vgprValuB_X2_I0+6+0+0+1], v[vgprValuA_X2_I0+10+0+0:vgprValuA_X2_I0+10+0+0+1], a[104:107]
/*  mfmaIndex:135  */
/* sched write - iter 2 writesPerItem=1 */
s_waitcnt vmcnt(0)                                 // lgkmcnt=-1 vmcnt=0wait for global read before writing to local
_ds_store_b32 v[vgprLocalWriteAddrB], v[vgprG2LB+6] offset:6528 // lwoB_0_0_6_0 = (0*LSCB)*(MT1J+PAD) + (6*LSPB) = 6528
v_mfma_f32_16x16x16_f16 a[100+0:103+0], v[vgprValuB_X2_I0+6+0+0:vgprValuB_X2_I0+6+0+0+1], v[vgprValuA_X2_I0+8+0+0:vgprValuA_X2_I0+8+0+0+1], a[100:103]
/*  mfmaIndex:136  */
v_mfma_f32_16x16x16_f16 a[96+0:99+0], v[vgprValuB_X2_I0+6+0+0:vgprValuB_X2_I0+6+0+0+1], v[vgprValuA_X2_I0+6+0+0:vgprValuA_X2_I0+6+0+0+1], a[96:99]
/*  mfmaIndex:137  */
	;; [unrolled: 2-line block ×3, first 2 shown]
/* sched write - iter 2 writesPerItem=1 */
s_waitcnt vmcnt(0)                                 // lgkmcnt=-1 vmcnt=0wait for global read before writing to local
_ds_store_b32 v[vgprLocalWriteAddrB], v[vgprG2LB+7] offset:7616 // lwoB_0_0_7_0 = (0*LSCB)*(MT1J+PAD) + (7*LSPB) = 7616
v_mfma_f32_16x16x16_f16 a[88+0:91+0], v[vgprValuB_X2_I0+6+0+0:vgprValuB_X2_I0+6+0+0+1], v[vgprValuA_X2_I0+2+0+0:vgprValuA_X2_I0+2+0+0+1], a[88:91]
/*  mfmaIndex:139  */
v_mfma_f32_16x16x16_f16 a[84+0:87+0], v[vgprValuB_X2_I0+6+0+0:vgprValuB_X2_I0+6+0+0+1], v[vgprValuA_X2_I0+0+0+0:vgprValuA_X2_I0+0+0+0+1], a[84:87]
/*  mfmaIndex:140  */
/* sched write - iter 2 writesPerItem=1 */
s_waitcnt vmcnt(0)                                 // lgkmcnt=-1 vmcnt=0wait for global read before writing to local
_ds_store_b32 v[vgprLocalWriteAddrB], v[vgprG2LB+8] offset:8704 // lwoB_0_0_8_0 = (0*LSCB)*(MT1J+PAD) + (8*LSPB) = 8704
v_mfma_f32_16x16x16_f16 a[112+0:115+0], v[vgprValuB_X2_I0+8+0+0:vgprValuB_X2_I0+8+0+0+1], v[vgprValuA_X2_I0+0+0+0:vgprValuA_X2_I0+0+0+0+1], a[112:115]
/*  mfmaIndex:141  */
v_mfma_f32_16x16x16_f16 a[116+0:119+0], v[vgprValuB_X2_I0+8+0+0:vgprValuB_X2_I0+8+0+0+1], v[vgprValuA_X2_I0+2+0+0:vgprValuA_X2_I0+2+0+0+1], a[116:119]
/*  mfmaIndex:142  */
	;; [unrolled: 2-line block ×3, first 2 shown]
/* sched write - iter 2 writesPerItem=1 */
s_waitcnt vmcnt(0)                                 // lgkmcnt=-1 vmcnt=0wait for global read before writing to local
_ds_store_b32 v[vgprLocalWriteAddrB], v[vgprG2LB+9] offset:9792 // lwoB_0_0_9_0 = (0*LSCB)*(MT1J+PAD) + (9*LSPB) = 9792
v_mfma_f32_16x16x16_f16 a[124+0:127+0], v[vgprValuB_X2_I0+8+0+0:vgprValuB_X2_I0+8+0+0+1], v[vgprValuA_X2_I0+6+0+0:vgprValuA_X2_I0+6+0+0+1], a[124:127]
/*  mfmaIndex:144  */
v_mfma_f32_16x16x16_f16 a[128+0:131+0], v[vgprValuB_X2_I0+8+0+0:vgprValuB_X2_I0+8+0+0+1], v[vgprValuA_X2_I0+8+0+0:vgprValuA_X2_I0+8+0+0+1], a[128:131]
/*  mfmaIndex:145  */
/* sched write - iter 2 writesPerItem=1 */
s_waitcnt vmcnt(0)                                 // lgkmcnt=-1 vmcnt=0wait for global read before writing to local
_ds_store_b32 v[vgprLocalWriteAddrB], v[vgprG2LB+10] offset:10880 // lwoB_0_0_10_0 = (0*LSCB)*(MT1J+PAD) + (10*LSPB) = 10880
v_mfma_f32_16x16x16_f16 a[132+0:135+0], v[vgprValuB_X2_I0+8+0+0:vgprValuB_X2_I0+8+0+0+1], v[vgprValuA_X2_I0+10+0+0:vgprValuA_X2_I0+10+0+0+1], a[132:135]
/*  mfmaIndex:146  */
v_mfma_f32_16x16x16_f16 a[136+0:139+0], v[vgprValuB_X2_I0+8+0+0:vgprValuB_X2_I0+8+0+0+1], v[vgprValuA_X2_I0+12+0+0:vgprValuA_X2_I0+12+0+0+1], a[136:139]
/*  mfmaIndex:147  */
v_mfma_f32_16x16x16_f16 a[164+0:167+0], v[vgprValuB_X2_I0+10+0+0:vgprValuB_X2_I0+10+0+0+1], v[vgprValuA_X2_I0+12+0+0:vgprValuA_X2_I0+12+0+0+1], a[164:167]
/*  mfmaIndex:148  */
/* sched write - iter 2 writesPerItem=1 */
s_waitcnt vmcnt(0)                                 // lgkmcnt=-1 vmcnt=0wait for global read before writing to local
_ds_store_b32 v[vgprLocalWriteAddrB], v[vgprG2LB+11] offset:11968 // lwoB_0_0_11_0 = (0*LSCB)*(MT1J+PAD) + (11*LSPB) = 11968
v_mfma_f32_16x16x16_f16 a[160+0:163+0], v[vgprValuB_X2_I0+10+0+0:vgprValuB_X2_I0+10+0+0+1], v[vgprValuA_X2_I0+10+0+0:vgprValuA_X2_I0+10+0+0+1], a[160:163]
/*  mfmaIndex:149  */
v_mfma_f32_16x16x16_f16 a[156+0:159+0], v[vgprValuB_X2_I0+10+0+0:vgprValuB_X2_I0+10+0+0+1], v[vgprValuA_X2_I0+8+0+0:vgprValuA_X2_I0+8+0+0+1], a[156:159]
/*  mfmaIndex:150  */
/* sched write - iter 2 writesPerItem=1 */
s_waitcnt vmcnt(0)                                 // lgkmcnt=-1 vmcnt=0wait for global read before writing to local
_ds_store_b32 v[vgprLocalWriteAddrB], v[vgprG2LB+12] offset:13056 // lwoB_0_0_12_0 = (0*LSCB)*(MT1J+PAD) + (12*LSPB) = 13056
v_mfma_f32_16x16x16_f16 a[152+0:155+0], v[vgprValuB_X2_I0+10+0+0:vgprValuB_X2_I0+10+0+0+1], v[vgprValuA_X2_I0+6+0+0:vgprValuA_X2_I0+6+0+0+1], a[152:155]
/*  mfmaIndex:151  */
v_mfma_f32_16x16x16_f16 a[148+0:151+0], v[vgprValuB_X2_I0+10+0+0:vgprValuB_X2_I0+10+0+0+1], v[vgprValuA_X2_I0+4+0+0:vgprValuA_X2_I0+4+0+0+1], a[148:151]
/*  mfmaIndex:152  */
	;; [unrolled: 2-line block ×3, first 2 shown]
/* sched write - iter 2 writesPerItem=1 */
s_waitcnt vmcnt(0)                                 // lgkmcnt=-1 vmcnt=0wait for global read before writing to local
_ds_store_b32 v[vgprLocalWriteAddrB], v[vgprG2LB+13] offset:14144 // lwoB_0_0_13_0 = (0*LSCB)*(MT1J+PAD) + (13*LSPB) = 14144
v_mfma_f32_16x16x16_f16 a[140+0:143+0], v[vgprValuB_X2_I0+10+0+0:vgprValuB_X2_I0+10+0+0+1], v[vgprValuA_X2_I0+0+0+0:vgprValuA_X2_I0+0+0+0+1], a[140:143]
/*  mfmaIndex:154  */
v_mfma_f32_16x16x16_f16 a[168+0:171+0], v[vgprValuB_X2_I0+12+0+0:vgprValuB_X2_I0+12+0+0+1], v[vgprValuA_X2_I0+0+0+0:vgprValuA_X2_I0+0+0+0+1], a[168:171]
/*  mfmaIndex:155  */
/* sched write - iter 2 writesPerItem=1 */
s_waitcnt vmcnt(0)                                 // lgkmcnt=-1 vmcnt=0wait for global read before writing to local
_ds_store_b32 v[vgprLocalWriteAddrB], v[vgprG2LB+14] offset:15232 // lwoB_0_0_14_0 = (0*LSCB)*(MT1J+PAD) + (14*LSPB) = 15232
v_mfma_f32_16x16x16_f16 a[172+0:175+0], v[vgprValuB_X2_I0+12+0+0:vgprValuB_X2_I0+12+0+0+1], v[vgprValuA_X2_I0+2+0+0:vgprValuA_X2_I0+2+0+0+1], a[172:175]
/*  mfmaIndex:156  */
v_mfma_f32_16x16x16_f16 a[176+0:179+0], v[vgprValuB_X2_I0+12+0+0:vgprValuB_X2_I0+12+0+0+1], v[vgprValuA_X2_I0+4+0+0:vgprValuA_X2_I0+4+0+0+1], a[176:179]
/*  mfmaIndex:157  */
	;; [unrolled: 2-line block ×3, first 2 shown]
/* sched write - iter 2 writesPerItem=1 */
s_waitcnt vmcnt(0)                                 // lgkmcnt=-1 vmcnt=0wait for global read before writing to local
_ds_store_b32 v[vgprLocalWriteAddrB], v[vgprG2LB+15] offset:16320 // lwoB_0_0_15_0 = (0*LSCB)*(MT1J+PAD) + (15*LSPB) = 16320
v_mfma_f32_16x16x16_f16 a[184+0:187+0], v[vgprValuB_X2_I0+12+0+0:vgprValuB_X2_I0+12+0+0+1], v[vgprValuA_X2_I0+8+0+0:vgprValuA_X2_I0+8+0+0+1], a[184:187]
/*  mfmaIndex:159  */
v_mfma_f32_16x16x16_f16 a[188+0:191+0], v[vgprValuB_X2_I0+12+0+0:vgprValuB_X2_I0+12+0+0+1], v[vgprValuA_X2_I0+10+0+0:vgprValuA_X2_I0+10+0+0+1], a[188:191]
/*  mfmaIndex:160  */
/* sched write - iter 2 writesPerItem=1 */
s_waitcnt vmcnt(0)                                 // lgkmcnt=-1 vmcnt=0wait for global read before writing to local
_ds_store_b32 v[vgprLocalWriteAddrB], v[vgprG2LB+16] offset:17408 // lwoB_0_0_16_0 = (0*LSCB)*(MT1J+PAD) + (16*LSPB) = 17408
v_mfma_f32_16x16x16_f16 a[192+0:195+0], v[vgprValuB_X2_I0+12+0+0:vgprValuB_X2_I0+12+0+0+1], v[vgprValuA_X2_I0+12+0+0:vgprValuA_X2_I0+12+0+0+1], a[192:195]
/*  mfmaIndex:161  */
v_mfma_f32_16x16x16_f16 a[220+0:223+0], v[vgprValuB_X2_I0+14+0+0:vgprValuB_X2_I0+14+0+0+1], v[vgprValuA_X2_I0+12+0+0:vgprValuA_X2_I0+12+0+0+1], a[220:223]
/*  mfmaIndex:162  */
	;; [unrolled: 2-line block ×3, first 2 shown]
/* sched write - iter 2 writesPerItem=1 */
s_waitcnt vmcnt(0)                                 // lgkmcnt=-1 vmcnt=0wait for global read before writing to local
_ds_store_b32 v[vgprLocalWriteAddrB], v[vgprG2LB+17] offset:18496 // lwoB_0_0_17_0 = (0*LSCB)*(MT1J+PAD) + (17*LSPB) = 18496
v_mfma_f32_16x16x16_f16 a[212+0:215+0], v[vgprValuB_X2_I0+14+0+0:vgprValuB_X2_I0+14+0+0+1], v[vgprValuA_X2_I0+8+0+0:vgprValuA_X2_I0+8+0+0+1], a[212:215]
/*  mfmaIndex:164  */
v_mfma_f32_16x16x16_f16 a[208+0:211+0], v[vgprValuB_X2_I0+14+0+0:vgprValuB_X2_I0+14+0+0+1], v[vgprValuA_X2_I0+6+0+0:vgprValuA_X2_I0+6+0+0+1], a[208:211]
/*  mfmaIndex:165  */
/* sched write - iter 2 writesPerItem=1 */
s_waitcnt vmcnt(0)                                 // lgkmcnt=-1 vmcnt=0wait for global read before writing to local
_ds_store_b32 v[vgprLocalWriteAddrB], v[vgprG2LB+18] offset:19584 // lwoB_0_0_18_0 = (0*LSCB)*(MT1J+PAD) + (18*LSPB) = 19584
v_mfma_f32_16x16x16_f16 a[204+0:207+0], v[vgprValuB_X2_I0+14+0+0:vgprValuB_X2_I0+14+0+0+1], v[vgprValuA_X2_I0+4+0+0:vgprValuA_X2_I0+4+0+0+1], a[204:207]
/*  mfmaIndex:166  */
v_mfma_f32_16x16x16_f16 a[200+0:203+0], v[vgprValuB_X2_I0+14+0+0:vgprValuB_X2_I0+14+0+0+1], v[vgprValuA_X2_I0+2+0+0:vgprValuA_X2_I0+2+0+0+1], a[200:203]
/*  mfmaIndex:167  */

/* local read swap offsets a */

/* local read swap offsets b */

/* local read init pointers a */

/* localReadInitPointers */

/* local read init pointers b */

/* localReadInitPointers */
v_mfma_f32_16x16x16_f16 a[196+0:199+0], v[vgprValuB_X2_I0+14+0+0:vgprValuB_X2_I0+14+0+0+1], v[vgprValuA_X2_I0+0+0+0:vgprValuA_X2_I0+0+0+0+1], a[196:199]


/* iter 3 (swap and reset local write pointers iteration)  */

/*  grEndMfmaIndex:18, lwStartMfmaIndex:52, lwEndMfmaIndex:198  */
/*  numMfmaForLR:20, barrierMfmaIndex:203, LocalWritePerMfma:0.405 */
/*  mfmaIndex:168  */
/* sched write - iter 3 writesPerItem=1 */
s_waitcnt vmcnt(0)                                 // lgkmcnt=-1 vmcnt=0wait for global read before writing to local
_ds_store_b32 v[vgprLocalWriteAddrB], v[vgprG2LB+19] offset:20672 // lwoB_0_0_19_0 = (0*LSCB)*(MT1J+PAD) + (19*LSPB) = 20672
v_mfma_f32_16x16x16_f16 a[0+0:3+0], v[vgprValuB_X3_I0+0+0+0:vgprValuB_X3_I0+0+0+0+1], v[vgprValuA_X3_I0+0+0+0:vgprValuA_X3_I0+0+0+0+1], a[0:3]
/*  mfmaIndex:169  */
v_mfma_f32_16x16x16_f16 a[4+0:7+0], v[vgprValuB_X3_I0+0+0+0:vgprValuB_X3_I0+0+0+0+1], v[vgprValuA_X3_I0+2+0+0:vgprValuA_X3_I0+2+0+0+1], a[4:7]
/*  mfmaIndex:170  */
/* sched write - iter 3 writesPerItem=1 */
s_waitcnt vmcnt(0)                                 // lgkmcnt=-1 vmcnt=0wait for global read before writing to local
_ds_store_b32 v[vgprLocalWriteAddrB], v[vgprG2LB+20] offset:21760 // lwoB_0_0_20_0 = (0*LSCB)*(MT1J+PAD) + (20*LSPB) = 21760
v_mfma_f32_16x16x16_f16 a[8+0:11+0], v[vgprValuB_X3_I0+0+0+0:vgprValuB_X3_I0+0+0+0+1], v[vgprValuA_X3_I0+4+0+0:vgprValuA_X3_I0+4+0+0+1], a[8:11]
/*  mfmaIndex:171  */
v_mfma_f32_16x16x16_f16 a[12+0:15+0], v[vgprValuB_X3_I0+0+0+0:vgprValuB_X3_I0+0+0+0+1], v[vgprValuA_X3_I0+6+0+0:vgprValuA_X3_I0+6+0+0+1], a[12:15]
/*  mfmaIndex:172  */
/* sched write - iter 3 writesPerItem=1 */
s_waitcnt vmcnt(0)                                 // lgkmcnt=-1 vmcnt=0wait for global read before writing to local
_ds_store_b32 v[vgprLocalWriteAddrB], v[vgprG2LB+21] offset:22848 // lwoB_0_0_21_0 = (0*LSCB)*(MT1J+PAD) + (21*LSPB) = 22848
v_mfma_f32_16x16x16_f16 a[16+0:19+0], v[vgprValuB_X3_I0+0+0+0:vgprValuB_X3_I0+0+0+0+1], v[vgprValuA_X3_I0+8+0+0:vgprValuA_X3_I0+8+0+0+1], a[16:19]
/*  mfmaIndex:173  */
v_mfma_f32_16x16x16_f16 a[20+0:23+0], v[vgprValuB_X3_I0+0+0+0:vgprValuB_X3_I0+0+0+0+1], v[vgprValuA_X3_I0+10+0+0:vgprValuA_X3_I0+10+0+0+1], a[20:23]
/*  mfmaIndex:174  */
	;; [unrolled: 2-line block ×3, first 2 shown]
/* sched write - iter 3 writesPerItem=1 */
s_waitcnt vmcnt(0)                                 // lgkmcnt=-1 vmcnt=0wait for global read before writing to local
_ds_store_b32 v[vgprLocalWriteAddrB], v[vgprG2LB+22] offset:23936 // lwoB_0_0_22_0 = (0*LSCB)*(MT1J+PAD) + (22*LSPB) = 23936
v_mfma_f32_16x16x16_f16 a[52+0:55+0], v[vgprValuB_X3_I0+2+0+0:vgprValuB_X3_I0+2+0+0+1], v[vgprValuA_X3_I0+12+0+0:vgprValuA_X3_I0+12+0+0+1], a[52:55]
/*  mfmaIndex:176  */
v_mfma_f32_16x16x16_f16 a[48+0:51+0], v[vgprValuB_X3_I0+2+0+0:vgprValuB_X3_I0+2+0+0+1], v[vgprValuA_X3_I0+10+0+0:vgprValuA_X3_I0+10+0+0+1], a[48:51]
/*  mfmaIndex:177  */
/* sched write - iter 3 writesPerItem=1 */
s_waitcnt vmcnt(0)                                 // lgkmcnt=-1 vmcnt=0wait for global read before writing to local
_ds_store_b32 v[vgprLocalWriteAddrB], v[vgprG2LB+23] offset:25024 // lwoB_0_0_23_0 = (0*LSCB)*(MT1J+PAD) + (23*LSPB) = 25024
v_mfma_f32_16x16x16_f16 a[44+0:47+0], v[vgprValuB_X3_I0+2+0+0:vgprValuB_X3_I0+2+0+0+1], v[vgprValuA_X3_I0+8+0+0:vgprValuA_X3_I0+8+0+0+1], a[44:47]
/*  mfmaIndex:178  */
v_mfma_f32_16x16x16_f16 a[40+0:43+0], v[vgprValuB_X3_I0+2+0+0:vgprValuB_X3_I0+2+0+0+1], v[vgprValuA_X3_I0+6+0+0:vgprValuA_X3_I0+6+0+0+1], a[40:43]
/*  mfmaIndex:179  */
	;; [unrolled: 2-line block ×3, first 2 shown]
/* sched write - iter 3 writesPerItem=1 */
s_waitcnt vmcnt(0)                                 // lgkmcnt=-1 vmcnt=0wait for global read before writing to local
_ds_store_b32 v[vgprLocalWriteAddrB], v[vgprG2LB+24] offset:26112 // lwoB_0_0_24_0 = (0*LSCB)*(MT1J+PAD) + (24*LSPB) = 26112
v_mfma_f32_16x16x16_f16 a[32+0:35+0], v[vgprValuB_X3_I0+2+0+0:vgprValuB_X3_I0+2+0+0+1], v[vgprValuA_X3_I0+2+0+0:vgprValuA_X3_I0+2+0+0+1], a[32:35]
/*  mfmaIndex:181  */
v_mfma_f32_16x16x16_f16 a[28+0:31+0], v[vgprValuB_X3_I0+2+0+0:vgprValuB_X3_I0+2+0+0+1], v[vgprValuA_X3_I0+0+0+0:vgprValuA_X3_I0+0+0+0+1], a[28:31]
/*  mfmaIndex:182  */
/* sched write - iter 3 writesPerItem=1 */
s_waitcnt vmcnt(0)                                 // lgkmcnt=-1 vmcnt=0wait for global read before writing to local
_ds_store_b32 v[vgprLocalWriteAddrB], v[vgprG2LB+25] offset:27200 // lwoB_0_0_25_0 = (0*LSCB)*(MT1J+PAD) + (25*LSPB) = 27200
v_mfma_f32_16x16x16_f16 a[56+0:59+0], v[vgprValuB_X3_I0+4+0+0:vgprValuB_X3_I0+4+0+0+1], v[vgprValuA_X3_I0+0+0+0:vgprValuA_X3_I0+0+0+0+1], a[56:59]
/*  mfmaIndex:183  */
v_mfma_f32_16x16x16_f16 a[60+0:63+0], v[vgprValuB_X3_I0+4+0+0:vgprValuB_X3_I0+4+0+0+1], v[vgprValuA_X3_I0+2+0+0:vgprValuA_X3_I0+2+0+0+1], a[60:63]
/*  mfmaIndex:184  */
	;; [unrolled: 2-line block ×3, first 2 shown]
/* sched write - iter 3 writesPerItem=1 */
s_waitcnt vmcnt(0)                                 // lgkmcnt=-1 vmcnt=0wait for global read before writing to local
_ds_store_b32 v[vgprLocalWriteAddrB], v[vgprG2LB+26] offset:28288 // lwoB_0_0_26_0 = (0*LSCB)*(MT1J+PAD) + (26*LSPB) = 28288
v_mfma_f32_16x16x16_f16 a[68+0:71+0], v[vgprValuB_X3_I0+4+0+0:vgprValuB_X3_I0+4+0+0+1], v[vgprValuA_X3_I0+6+0+0:vgprValuA_X3_I0+6+0+0+1], a[68:71]
/*  mfmaIndex:186  */
v_mfma_f32_16x16x16_f16 a[72+0:75+0], v[vgprValuB_X3_I0+4+0+0:vgprValuB_X3_I0+4+0+0+1], v[vgprValuA_X3_I0+8+0+0:vgprValuA_X3_I0+8+0+0+1], a[72:75]
/*  mfmaIndex:187  */
/* sched write - iter 3 writesPerItem=1 */
s_waitcnt vmcnt(0)                                 // lgkmcnt=-1 vmcnt=0wait for global read before writing to local
_ds_store_b32 v[vgprLocalWriteAddrB], v[vgprG2LB+27] offset:29376 // lwoB_0_0_27_0 = (0*LSCB)*(MT1J+PAD) + (27*LSPB) = 29376
v_mfma_f32_16x16x16_f16 a[76+0:79+0], v[vgprValuB_X3_I0+4+0+0:vgprValuB_X3_I0+4+0+0+1], v[vgprValuA_X3_I0+10+0+0:vgprValuA_X3_I0+10+0+0+1], a[76:79]
/*  mfmaIndex:188  */
v_mfma_f32_16x16x16_f16 a[80+0:83+0], v[vgprValuB_X3_I0+4+0+0:vgprValuB_X3_I0+4+0+0+1], v[vgprValuA_X3_I0+12+0+0:vgprValuA_X3_I0+12+0+0+1], a[80:83]
/*  mfmaIndex:189  */
v_mfma_f32_16x16x16_f16 a[108+0:111+0], v[vgprValuB_X3_I0+6+0+0:vgprValuB_X3_I0+6+0+0+1], v[vgprValuA_X3_I0+12+0+0:vgprValuA_X3_I0+12+0+0+1], a[108:111]
/*  mfmaIndex:190  */
/* sched write - iter 3 writesPerItem=1 */
s_waitcnt vmcnt(0)                                 // lgkmcnt=-1 vmcnt=0wait for global read before writing to local
_ds_store_b32 v[vgprLocalWriteAddrB], v[vgprG2LB+28] offset:30464 // lwoB_0_0_28_0 = (0*LSCB)*(MT1J+PAD) + (28*LSPB) = 30464
v_mfma_f32_16x16x16_f16 a[104+0:107+0], v[vgprValuB_X3_I0+6+0+0:vgprValuB_X3_I0+6+0+0+1], v[vgprValuA_X3_I0+10+0+0:vgprValuA_X3_I0+10+0+0+1], a[104:107]
/*  mfmaIndex:191  */
v_mfma_f32_16x16x16_f16 a[100+0:103+0], v[vgprValuB_X3_I0+6+0+0:vgprValuB_X3_I0+6+0+0+1], v[vgprValuA_X3_I0+8+0+0:vgprValuA_X3_I0+8+0+0+1], a[100:103]
/*  mfmaIndex:192  */
/* sched write - iter 3 writesPerItem=1 */
s_waitcnt vmcnt(0)                                 // lgkmcnt=-1 vmcnt=0wait for global read before writing to local
_ds_store_b32 v[vgprLocalWriteAddrB], v[vgprG2LB+29] offset:31552 // lwoB_0_0_29_0 = (0*LSCB)*(MT1J+PAD) + (29*LSPB) = 31552
v_mfma_f32_16x16x16_f16 a[96+0:99+0], v[vgprValuB_X3_I0+6+0+0:vgprValuB_X3_I0+6+0+0+1], v[vgprValuA_X3_I0+6+0+0:vgprValuA_X3_I0+6+0+0+1], a[96:99]
/*  mfmaIndex:193  */
v_mfma_f32_16x16x16_f16 a[92+0:95+0], v[vgprValuB_X3_I0+6+0+0:vgprValuB_X3_I0+6+0+0+1], v[vgprValuA_X3_I0+4+0+0:vgprValuA_X3_I0+4+0+0+1], a[92:95]
/*  mfmaIndex:194  */
	;; [unrolled: 2-line block ×3, first 2 shown]
/* sched write - iter 3 writesPerItem=1 */
s_waitcnt vmcnt(0)                                 // lgkmcnt=-1 vmcnt=0wait for global read before writing to local
_ds_store_b32 v[vgprLocalWriteAddrB], v[vgprG2LB+30] offset:32640 // lwoB_0_0_30_0 = (0*LSCB)*(MT1J+PAD) + (30*LSPB) = 32640
v_mfma_f32_16x16x16_f16 a[84+0:87+0], v[vgprValuB_X3_I0+6+0+0:vgprValuB_X3_I0+6+0+0+1], v[vgprValuA_X3_I0+0+0+0:vgprValuA_X3_I0+0+0+0+1], a[84:87]
/*  mfmaIndex:196  */
v_mfma_f32_16x16x16_f16 a[112+0:115+0], v[vgprValuB_X3_I0+8+0+0:vgprValuB_X3_I0+8+0+0+1], v[vgprValuA_X3_I0+0+0+0:vgprValuA_X3_I0+0+0+0+1], a[112:115]
/*  mfmaIndex:197  */
/* sched write - iter 3 writesPerItem=1 */
s_waitcnt vmcnt(0)                                 // lgkmcnt=-1 vmcnt=0wait for global read before writing to local
_ds_store_b32 v[vgprLocalWriteAddrB], v[vgprG2LB+31] offset:33728 // lwoB_0_0_31_0 = (0*LSCB)*(MT1J+PAD) + (31*LSPB) = 33728
v_mfma_f32_16x16x16_f16 a[116+0:119+0], v[vgprValuB_X3_I0+8+0+0:vgprValuB_X3_I0+8+0+0+1], v[vgprValuA_X3_I0+2+0+0:vgprValuA_X3_I0+2+0+0+1], a[116:119]
/*  mfmaIndex:198  */

/* local write swap offsets a */

/* local write swap offsets b */
v_mfma_f32_16x16x16_f16 a[120+0:123+0], v[vgprValuB_X3_I0+8+0+0:vgprValuB_X3_I0+8+0+0+1], v[vgprValuA_X3_I0+4+0+0:vgprValuA_X3_I0+4+0+0+1], a[120:123]
/*  mfmaIndex:199  */
v_mfma_f32_16x16x16_f16 a[124+0:127+0], v[vgprValuB_X3_I0+8+0+0:vgprValuB_X3_I0+8+0+0+1], v[vgprValuA_X3_I0+6+0+0:vgprValuA_X3_I0+6+0+0+1], a[124:127]
/*  mfmaIndex:200  */
	;; [unrolled: 2-line block ×4, first 2 shown]
v_mfma_f32_16x16x16_f16 a[136+0:139+0], v[vgprValuB_X3_I0+8+0+0:vgprValuB_X3_I0+8+0+0+1], v[vgprValuA_X3_I0+12+0+0:vgprValuA_X3_I0+12+0+0+1], a[136:139]
s_setprio 0                                        // store optimization
/*  mfmaIndex:203  */
s_waitcnt lgkmcnt(0)                               // lgkmcnt=0 vmcnt=-13wait for local write
// Skip force waitcnt0
s_barrier //
v_mfma_f32_16x16x16_f16 a[164+0:167+0], v[vgprValuB_X3_I0+10+0+0:vgprValuB_X3_I0+10+0+0+1], v[vgprValuA_X3_I0+12+0+0:vgprValuA_X3_I0+12+0+0+1], a[164:167]
/*  mfmaIndex:204  */
s_setprio 3                                        // store optimization
_ds_load_b64 v[vgprValuA_X0_I0+0:vgprValuA_X0_I0+0+1], v[vgprLocalReadAddrA] offset:0 // L -> Reg lro=0 swapByteOffset=0 ti=32 vIdx=0 rIdx=0 oIdx=0 buffer=0 iui=0
v_mfma_f32_16x16x16_f16 a[160+0:163+0], v[vgprValuB_X3_I0+10+0+0:vgprValuB_X3_I0+10+0+0+1], v[vgprValuA_X3_I0+10+0+0:vgprValuA_X3_I0+10+0+0+1], a[160:163]
/*  mfmaIndex:205  */
_ds_load_b64 v[vgprValuB_X0_I0+0:vgprValuB_X0_I0+0+1], v[vgprLocalReadAddrB] offset:0 // L -> Reg lro=0 swapByteOffset=0 ti=32 vIdx=0 rIdx=0 oIdx=0 buffer=0 iui=0
v_mfma_f32_16x16x16_f16 a[156+0:159+0], v[vgprValuB_X3_I0+10+0+0:vgprValuB_X3_I0+10+0+0+1], v[vgprValuA_X3_I0+8+0+0:vgprValuA_X3_I0+8+0+0+1], a[156:159]
/*  mfmaIndex:206  */
_ds_load_b64 v[vgprValuA_X0_I0+2:vgprValuA_X0_I0+2+1], v[vgprLocalReadAddrA] offset:4352 // L -> Reg lro=0 swapByteOffset=0 ti=32 vIdx=1 rIdx=0 oIdx=0 buffer=0 iui=0
v_mfma_f32_16x16x16_f16 a[152+0:155+0], v[vgprValuB_X3_I0+10+0+0:vgprValuB_X3_I0+10+0+0+1], v[vgprValuA_X3_I0+6+0+0:vgprValuA_X3_I0+6+0+0+1], a[152:155]
/*  mfmaIndex:207  */
_ds_load_b64 v[vgprValuA_X0_I0+4:vgprValuA_X0_I0+4+1], v[vgprLocalReadAddrA] offset:8704 // L -> Reg lro=0 swapByteOffset=0 ti=32 vIdx=2 rIdx=0 oIdx=0 buffer=0 iui=0
	;; [unrolled: 3-line block ×6, first 2 shown]
v_mfma_f32_16x16x16_f16 a[172+0:175+0], v[vgprValuB_X3_I0+12+0+0:vgprValuB_X3_I0+12+0+0+1], v[vgprValuA_X3_I0+2+0+0:vgprValuA_X3_I0+2+0+0+1], a[172:175]
/*  mfmaIndex:212  */
_ds_load_b64 v[vgprValuB_X0_I0+2:vgprValuB_X0_I0+2+1], v[vgprLocalReadAddrB] offset:4352 // L -> Reg lro=0 swapByteOffset=0 ti=32 vIdx=1 rIdx=0 oIdx=0 buffer=0 iui=0
v_mfma_f32_16x16x16_f16 a[176+0:179+0], v[vgprValuB_X3_I0+12+0+0:vgprValuB_X3_I0+12+0+0+1], v[vgprValuA_X3_I0+4+0+0:vgprValuA_X3_I0+4+0+0+1], a[176:179]
/*  mfmaIndex:213  */
_ds_load_b64 v[vgprValuB_X0_I0+4:vgprValuB_X0_I0+4+1], v[vgprLocalReadAddrB] offset:8704 // L -> Reg lro=0 swapByteOffset=0 ti=32 vIdx=2 rIdx=0 oIdx=0 buffer=0 iui=0
	;; [unrolled: 3-line block ×7, first 2 shown]
v_mfma_f32_16x16x16_f16 a[216+0:219+0], v[vgprValuB_X3_I0+14+0+0:vgprValuB_X3_I0+14+0+0+1], v[vgprValuA_X3_I0+10+0+0:vgprValuA_X3_I0+10+0+0+1], a[216:219]
/*  mfmaIndex:219  */
v_mfma_f32_16x16x16_f16 a[212+0:215+0], v[vgprValuB_X3_I0+14+0+0:vgprValuB_X3_I0+14+0+0+1], v[vgprValuA_X3_I0+8+0+0:vgprValuA_X3_I0+8+0+0+1], a[212:215]
/*  mfmaIndex:220  */
	;; [unrolled: 2-line block ×5, first 2 shown]
v_mfma_f32_16x16x16_f16 a[196+0:199+0], v[vgprValuB_X3_I0+14+0+0:vgprValuB_X3_I0+14+0+0+1], v[vgprValuA_X3_I0+0+0+0:vgprValuA_X3_I0+0+0+0+1], a[196:199]
s_setprio 0                                        // store optimization

label_0014:


/******************************************/
/* Opt. NoLoadLoop Without PAP - Begin                                      */
/******************************************/

s_cmpk_eq_u32 s[sgprBeta], 0x0                     // Beta == 0
s_cbranch_scc0 OptNLL_End_17                       // Branch if Beta is not zero

s_cmp_eq_u32 s[sgprAlpha], 1.0                     // Alpha == 1.0 ?
s_cbranch_scc0 OptNLL_End_17                       // branch if alpha != 1

s_mov_b32 s59, 0x0                                 // STATIC_DIV: divisior=224
s_mul_i32 s58, 0x249, s[sgprSizeI]                 // tmp1 = dividend * magic hi
s_lshl_b64 s[58:59], s[58:59], 0x10                // left shift 16 bits
s_mul_i32 s57, s[sgprSizeI], 0x2493                // tmp0 = dividend * magic lo
s_add_u32 s58, s57, s58                            // add lo
s_addc_u32 s59, s59, 0x0                           // add hi
s_lshr_b64 s[58:59], s[58:59], 0x21                // tmp1 = (dividend * magic) << shift
s_mov_b32 s57, s58                                 // quotient
s_mul_i32 s58, s57, 0xe0                           // quotient*divisor
s_sub_u32 s56, s[sgprSizeI], s58                   // rReg = dividend - quotient*divisor
s_add_u32 s57, -0x1, s[sgprNumWorkGroups0]         // 
s_cmp_ge_u32 s[sgprWorkGroup0], s57                // wg0 >= nwg0-1 ?
s_cselect_b32 s56, s56, 0                          // set rMT0
s_cmpk_gt_u32 s56, 0x0                             // rMT0 > 0
s_cbranch_scc1 OptNLL_End_17                       // jump if edges required
s_and_b32 s56, 255, s[sgprSizeJ]                   // s56 = s[sgprSizeJ] % 256
s_add_u32 s57, -0x1, s[sgprNumWorkGroups1]         // 
s_cmp_ge_u32 s[sgprWorkGroup1], s57                // wg1 >= nwg1-1
s_cselect_b32 s56, s56, 0                          // set rMT1
s_cmpk_gt_u32 s56, 0x0                             // rMT1 > 0
s_cbranch_scc1 OptNLL_End_17                       // jump if edges required

s_and_b32 s57, 63, s[sgprSizesSum+0]               // s57 = s[sgprSizesSum+0] % 64
s_cmp_eq_u32 s57, 0x0                              // numIterL == 0
s_cbranch_scc0 OptNLL_End_17                       // skip if tail loop required


	;; [unrolled: 1-line block ×3, first 2 shown]
/* iter 0 (last unrolled loop) */

/*  grEndMfmaIndex:0, lwStartMfmaIndex:198, lwEndMfmaIndex:198  */
/*  numMfmaForLR:20, barrierMfmaIndex:203, LocalWritePerMfma:0.405 */
/*  mfmaIndex:0  */
s_waitcnt lgkmcnt(0)                               // lgkmcnt=0 vmcnt=-1wait for prior local read local write old=0, new=0 newLW=0 newLR=0
v_mfma_f32_16x16x16_f16 a[0+0:3+0], v[vgprValuB_X0_I0+0+0+0:vgprValuB_X0_I0+0+0+0+1], v[vgprValuA_X0_I0+0+0+0:vgprValuA_X0_I0+0+0+0+1], a[0:3]
/*  mfmaIndex:1  */
_ds_load_b64 v[vgprValuA_X1_I0+0:vgprValuA_X1_I0+0+1], v[vgprLocalReadAddrA] offset:32 // L -> Reg lro=16 swapByteOffset=0 ti=32 vIdx=0 rIdx=0 oIdx=0 buffer=1 iui=0
v_mfma_f32_16x16x16_f16 a[4+0:7+0], v[vgprValuB_X0_I0+0+0+0:vgprValuB_X0_I0+0+0+0+1], v[vgprValuA_X0_I0+2+0+0:vgprValuA_X0_I0+2+0+0+1], a[4:7]
/*  mfmaIndex:2  */
_ds_load_b64 v[vgprValuB_X1_I0+0:vgprValuB_X1_I0+0+1], v[vgprLocalReadAddrB] offset:32 // L -> Reg lro=16 swapByteOffset=0 ti=32 vIdx=0 rIdx=0 oIdx=0 buffer=1 iui=0
v_mfma_f32_16x16x16_f16 a[8+0:11+0], v[vgprValuB_X0_I0+0+0+0:vgprValuB_X0_I0+0+0+0+1], v[vgprValuA_X0_I0+4+0+0:vgprValuA_X0_I0+4+0+0+1], a[8:11]
/*  mfmaIndex:3  */
_ds_load_b64 v[vgprValuA_X1_I0+2:vgprValuA_X1_I0+2+1], v[vgprLocalReadAddrA] offset:4384 // L -> Reg lro=16 swapByteOffset=0 ti=32 vIdx=1 rIdx=0 oIdx=0 buffer=1 iui=0
v_mfma_f32_16x16x16_f16 a[12+0:15+0], v[vgprValuB_X0_I0+0+0+0:vgprValuB_X0_I0+0+0+0+1], v[vgprValuA_X0_I0+6+0+0:vgprValuA_X0_I0+6+0+0+1], a[12:15]
/*  mfmaIndex:4  */
_ds_load_b64 v[vgprValuA_X1_I0+4:vgprValuA_X1_I0+4+1], v[vgprLocalReadAddrA] offset:8736 // L -> Reg lro=16 swapByteOffset=0 ti=32 vIdx=2 rIdx=0 oIdx=0 buffer=1 iui=0
v_mfma_f32_16x16x16_f16 a[16+0:19+0], v[vgprValuB_X0_I0+0+0+0:vgprValuB_X0_I0+0+0+0+1], v[vgprValuA_X0_I0+8+0+0:vgprValuA_X0_I0+8+0+0+1], a[16:19]
/*  mfmaIndex:5  */
_ds_load_b64 v[vgprValuA_X1_I0+6:vgprValuA_X1_I0+6+1], v[vgprLocalReadAddrA] offset:13088 // L -> Reg lro=16 swapByteOffset=0 ti=32 vIdx=3 rIdx=0 oIdx=0 buffer=1 iui=0
v_mfma_f32_16x16x16_f16 a[20+0:23+0], v[vgprValuB_X0_I0+0+0+0:vgprValuB_X0_I0+0+0+0+1], v[vgprValuA_X0_I0+10+0+0:vgprValuA_X0_I0+10+0+0+1], a[20:23]
/*  mfmaIndex:6  */
_ds_load_b64 v[vgprValuA_X1_I0+8:vgprValuA_X1_I0+8+1], v[vgprLocalReadAddrA] offset:17440 // L -> Reg lro=16 swapByteOffset=0 ti=32 vIdx=4 rIdx=0 oIdx=0 buffer=1 iui=0
v_mfma_f32_16x16x16_f16 a[24+0:27+0], v[vgprValuB_X0_I0+0+0+0:vgprValuB_X0_I0+0+0+0+1], v[vgprValuA_X0_I0+12+0+0:vgprValuA_X0_I0+12+0+0+1], a[24:27]
/*  mfmaIndex:7  */
_ds_load_b64 v[vgprValuA_X1_I0+10:vgprValuA_X1_I0+10+1], v[vgprLocalReadAddrA] offset:21792 // L -> Reg lro=16 swapByteOffset=0 ti=32 vIdx=5 rIdx=0 oIdx=0 buffer=1 iui=0
v_mfma_f32_16x16x16_f16 a[52+0:55+0], v[vgprValuB_X0_I0+2+0+0:vgprValuB_X0_I0+2+0+0+1], v[vgprValuA_X0_I0+12+0+0:vgprValuA_X0_I0+12+0+0+1], a[52:55]
/*  mfmaIndex:8  */
_ds_load_b64 v[vgprValuA_X1_I0+12:vgprValuA_X1_I0+12+1], v[vgprLocalReadAddrA] offset:26144 // L -> Reg lro=16 swapByteOffset=0 ti=32 vIdx=6 rIdx=0 oIdx=0 buffer=1 iui=0
v_mfma_f32_16x16x16_f16 a[48+0:51+0], v[vgprValuB_X0_I0+2+0+0:vgprValuB_X0_I0+2+0+0+1], v[vgprValuA_X0_I0+10+0+0:vgprValuA_X0_I0+10+0+0+1], a[48:51]
/*  mfmaIndex:9  */
_ds_load_b64 v[vgprValuB_X1_I0+2:vgprValuB_X1_I0+2+1], v[vgprLocalReadAddrB] offset:4384 // L -> Reg lro=16 swapByteOffset=0 ti=32 vIdx=1 rIdx=0 oIdx=0 buffer=1 iui=0
v_mfma_f32_16x16x16_f16 a[44+0:47+0], v[vgprValuB_X0_I0+2+0+0:vgprValuB_X0_I0+2+0+0+1], v[vgprValuA_X0_I0+8+0+0:vgprValuA_X0_I0+8+0+0+1], a[44:47]
/*  mfmaIndex:10  */
_ds_load_b64 v[vgprValuB_X1_I0+4:vgprValuB_X1_I0+4+1], v[vgprLocalReadAddrB] offset:8736 // L -> Reg lro=16 swapByteOffset=0 ti=32 vIdx=2 rIdx=0 oIdx=0 buffer=1 iui=0
	;; [unrolled: 3-line block ×7, first 2 shown]
v_mfma_f32_16x16x16_f16 a[60+0:63+0], v[vgprValuB_X0_I0+4+0+0:vgprValuB_X0_I0+4+0+0+1], v[vgprValuA_X0_I0+2+0+0:vgprValuA_X0_I0+2+0+0+1], a[60:63]
/*  mfmaIndex:16  */
/* localReadsVacancy: latencyLeft 2 */
_ds_load_b64 v[vgprValuA_X2_I0+0:vgprValuA_X2_I0+0+1], v[vgprLocalReadAddrA] offset:64 // L -> Reg lro=32 swapByteOffset=0 ti=32 vIdx=0 rIdx=0 oIdx=0 buffer=2 iui=0
v_mfma_f32_16x16x16_f16 a[64+0:67+0], v[vgprValuB_X0_I0+4+0+0:vgprValuB_X0_I0+4+0+0+1], v[vgprValuA_X0_I0+4+0+0:vgprValuA_X0_I0+4+0+0+1], a[64:67]
/*  mfmaIndex:17  */
/* localReadsVacancy: latencyLeft 2 */
_ds_load_b64 v[vgprValuB_X2_I0+0:vgprValuB_X2_I0+0+1], v[vgprLocalReadAddrB] offset:64 // L -> Reg lro=32 swapByteOffset=0 ti=32 vIdx=0 rIdx=0 oIdx=0 buffer=2 iui=0
v_mfma_f32_16x16x16_f16 a[68+0:71+0], v[vgprValuB_X0_I0+4+0+0:vgprValuB_X0_I0+4+0+0+1], v[vgprValuA_X0_I0+6+0+0:vgprValuA_X0_I0+6+0+0+1], a[68:71]
/*  mfmaIndex:18  */
/* localReadsVacancy: latencyLeft 2 */
_ds_load_b64 v[vgprValuA_X2_I0+2:vgprValuA_X2_I0+2+1], v[vgprLocalReadAddrA] offset:4416 // L -> Reg lro=32 swapByteOffset=0 ti=32 vIdx=1 rIdx=0 oIdx=0 buffer=2 iui=0
v_mfma_f32_16x16x16_f16 a[72+0:75+0], v[vgprValuB_X0_I0+4+0+0:vgprValuB_X0_I0+4+0+0+1], v[vgprValuA_X0_I0+8+0+0:vgprValuA_X0_I0+8+0+0+1], a[72:75]
/*  mfmaIndex:19  */
/* localReadsVacancy: latencyLeft 2 */
_ds_load_b64 v[vgprValuA_X2_I0+4:vgprValuA_X2_I0+4+1], v[vgprLocalReadAddrA] offset:8768 // L -> Reg lro=32 swapByteOffset=0 ti=32 vIdx=2 rIdx=0 oIdx=0 buffer=2 iui=0
	;; [unrolled: 4-line block ×6, first 2 shown]
v_mfma_f32_16x16x16_f16 a[100+0:103+0], v[vgprValuB_X0_I0+6+0+0:vgprValuB_X0_I0+6+0+0+1], v[vgprValuA_X0_I0+8+0+0:vgprValuA_X0_I0+8+0+0+1], a[100:103]
/*  mfmaIndex:24  */
/* localReadsVacancy: latencyLeft 2 */
_ds_load_b64 v[vgprValuB_X2_I0+2:vgprValuB_X2_I0+2+1], v[vgprLocalReadAddrB] offset:4416 // L -> Reg lro=32 swapByteOffset=0 ti=32 vIdx=1 rIdx=0 oIdx=0 buffer=2 iui=0
v_mfma_f32_16x16x16_f16 a[96+0:99+0], v[vgprValuB_X0_I0+6+0+0:vgprValuB_X0_I0+6+0+0+1], v[vgprValuA_X0_I0+6+0+0:vgprValuA_X0_I0+6+0+0+1], a[96:99]
/*  mfmaIndex:25  */
/* localReadsVacancy: latencyLeft 2 */
_ds_load_b64 v[vgprValuB_X2_I0+4:vgprValuB_X2_I0+4+1], v[vgprLocalReadAddrB] offset:8768 // L -> Reg lro=32 swapByteOffset=0 ti=32 vIdx=2 rIdx=0 oIdx=0 buffer=2 iui=0
	;; [unrolled: 4-line block ×7, first 2 shown]
v_mfma_f32_16x16x16_f16 a[120+0:123+0], v[vgprValuB_X0_I0+8+0+0:vgprValuB_X0_I0+8+0+0+1], v[vgprValuA_X0_I0+4+0+0:vgprValuA_X0_I0+4+0+0+1], a[120:123]
/*  mfmaIndex:31  */
/* localReadsVacancy: latencyLeft 2 */
_ds_load_b64 v[vgprValuA_X3_I0+0:vgprValuA_X3_I0+0+1], v[vgprLocalReadAddrA] offset:96 // L -> Reg lro=48 swapByteOffset=0 ti=32 vIdx=0 rIdx=0 oIdx=0 buffer=3 iui=0
v_mfma_f32_16x16x16_f16 a[124+0:127+0], v[vgprValuB_X0_I0+8+0+0:vgprValuB_X0_I0+8+0+0+1], v[vgprValuA_X0_I0+6+0+0:vgprValuA_X0_I0+6+0+0+1], a[124:127]
/*  mfmaIndex:32  */
/* localReadsVacancy: latencyLeft 2 */
_ds_load_b64 v[vgprValuB_X3_I0+0:vgprValuB_X3_I0+0+1], v[vgprLocalReadAddrB] offset:96 // L -> Reg lro=48 swapByteOffset=0 ti=32 vIdx=0 rIdx=0 oIdx=0 buffer=3 iui=0
v_mfma_f32_16x16x16_f16 a[128+0:131+0], v[vgprValuB_X0_I0+8+0+0:vgprValuB_X0_I0+8+0+0+1], v[vgprValuA_X0_I0+8+0+0:vgprValuA_X0_I0+8+0+0+1], a[128:131]
/*  mfmaIndex:33  */
/* localReadsVacancy: latencyLeft 2 */
_ds_load_b64 v[vgprValuA_X3_I0+2:vgprValuA_X3_I0+2+1], v[vgprLocalReadAddrA] offset:4448 // L -> Reg lro=48 swapByteOffset=0 ti=32 vIdx=1 rIdx=0 oIdx=0 buffer=3 iui=0
v_mfma_f32_16x16x16_f16 a[132+0:135+0], v[vgprValuB_X0_I0+8+0+0:vgprValuB_X0_I0+8+0+0+1], v[vgprValuA_X0_I0+10+0+0:vgprValuA_X0_I0+10+0+0+1], a[132:135]
/*  mfmaIndex:34  */
/* localReadsVacancy: latencyLeft 2 */
_ds_load_b64 v[vgprValuA_X3_I0+4:vgprValuA_X3_I0+4+1], v[vgprLocalReadAddrA] offset:8800 // L -> Reg lro=48 swapByteOffset=0 ti=32 vIdx=2 rIdx=0 oIdx=0 buffer=3 iui=0
	;; [unrolled: 4-line block ×6, first 2 shown]
v_mfma_f32_16x16x16_f16 a[152+0:155+0], v[vgprValuB_X0_I0+10+0+0:vgprValuB_X0_I0+10+0+0+1], v[vgprValuA_X0_I0+6+0+0:vgprValuA_X0_I0+6+0+0+1], a[152:155]
/*  mfmaIndex:39  */
/* localReadsVacancy: latencyLeft 2 */
_ds_load_b64 v[vgprValuB_X3_I0+2:vgprValuB_X3_I0+2+1], v[vgprLocalReadAddrB] offset:4448 // L -> Reg lro=48 swapByteOffset=0 ti=32 vIdx=1 rIdx=0 oIdx=0 buffer=3 iui=0
v_mfma_f32_16x16x16_f16 a[148+0:151+0], v[vgprValuB_X0_I0+10+0+0:vgprValuB_X0_I0+10+0+0+1], v[vgprValuA_X0_I0+4+0+0:vgprValuA_X0_I0+4+0+0+1], a[148:151]
/*  mfmaIndex:40  */
/* localReadsVacancy: latencyLeft 2 */
_ds_load_b64 v[vgprValuB_X3_I0+4:vgprValuB_X3_I0+4+1], v[vgprLocalReadAddrB] offset:8800 // L -> Reg lro=48 swapByteOffset=0 ti=32 vIdx=2 rIdx=0 oIdx=0 buffer=3 iui=0
	;; [unrolled: 4-line block ×7, first 2 shown]
v_mfma_f32_16x16x16_f16 a[180+0:183+0], v[vgprValuB_X0_I0+12+0+0:vgprValuB_X0_I0+12+0+0+1], v[vgprValuA_X0_I0+6+0+0:vgprValuA_X0_I0+6+0+0+1], a[180:183]
/*  mfmaIndex:46  */
/* localReadsVacancy: latencyLeft 2 */
v_mfma_f32_16x16x16_f16 a[184+0:187+0], v[vgprValuB_X0_I0+12+0+0:vgprValuB_X0_I0+12+0+0+1], v[vgprValuA_X0_I0+8+0+0:vgprValuA_X0_I0+8+0+0+1], a[184:187]
/*  mfmaIndex:47  */
/* localReadsVacancy: latencyLeft 2 */
	;; [unrolled: 3-line block ×10, first 2 shown]
v_mfma_f32_16x16x16_f16 a[196+0:199+0], v[vgprValuB_X0_I0+14+0+0:vgprValuB_X0_I0+14+0+0+1], v[vgprValuA_X0_I0+0+0+0:vgprValuA_X0_I0+0+0+0+1], a[196:199]
/* numPrefetchIter=0 */
/* dataAtIterA=-1 numReadsIterA=1 skipReadsIterA=1 readsPerIterA=7 */
/* dataAtIterB=-1 numReadsIterB=1 skipReadsIterB=1 readsPerIterB=8 */


/* iter 1 (last unrolled loop) */

/*  grEndMfmaIndex:0, lwStartMfmaIndex:198, lwEndMfmaIndex:198  */
/*  numMfmaForLR:20, barrierMfmaIndex:203, LocalWritePerMfma:0.405 */
/*  mfmaIndex:56  */
/* localReadsVacancy: latencyLeft 2 */
s_waitcnt lgkmcnt(15)                              // lgkmcnt=0 vmcnt=-1wait for prior local read local write old=15, new=15 newLW=0 newLR=0
v_mfma_f32_16x16x16_f16 a[0+0:3+0], v[vgprValuB_X1_I0+0+0+0:vgprValuB_X1_I0+0+0+0+1], v[vgprValuA_X1_I0+0+0+0:vgprValuA_X1_I0+0+0+0+1], a[0:3]
/*  mfmaIndex:57  */
/* localReadsVacancy: latencyLeft 2 */
v_mfma_f32_16x16x16_f16 a[4+0:7+0], v[vgprValuB_X1_I0+0+0+0:vgprValuB_X1_I0+0+0+0+1], v[vgprValuA_X1_I0+2+0+0:vgprValuA_X1_I0+2+0+0+1], a[4:7]
/*  mfmaIndex:58  */
/* localReadsVacancy: latencyLeft 2 */
	;; [unrolled: 3-line block ×55, first 2 shown]
v_mfma_f32_16x16x16_f16 a[196+0:199+0], v[vgprValuB_X1_I0+14+0+0:vgprValuB_X1_I0+14+0+0+1], v[vgprValuA_X1_I0+0+0+0:vgprValuA_X1_I0+0+0+0+1], a[196:199]
/* numPrefetchIter=0 */
/* dataAtIterA=0 numReadsIterA=2 skipReadsIterA=1 readsPerIterA=7 */
/* dataAtIterB=0 numReadsIterB=2 skipReadsIterB=1 readsPerIterB=8 */


/* iter 2 (last unrolled loop) */

/*  grEndMfmaIndex:0, lwStartMfmaIndex:198, lwEndMfmaIndex:198  */
/*  numMfmaForLR:20, barrierMfmaIndex:203, LocalWritePerMfma:0.405 */
/*  mfmaIndex:112  */
/* localReadsVacancy: latencyLeft 2 */
s_waitcnt lgkmcnt(0)                               // lgkmcnt=0 vmcnt=-1wait for prior local read local write old=0, new=0 newLW=0 newLR=0
v_mfma_f32_16x16x16_f16 a[0+0:3+0], v[vgprValuB_X2_I0+0+0+0:vgprValuB_X2_I0+0+0+0+1], v[vgprValuA_X2_I0+0+0+0:vgprValuA_X2_I0+0+0+0+1], a[0:3]
/*  mfmaIndex:113  */
/* localReadsVacancy: latencyLeft 2 */
v_mfma_f32_16x16x16_f16 a[4+0:7+0], v[vgprValuB_X2_I0+0+0+0:vgprValuB_X2_I0+0+0+0+1], v[vgprValuA_X2_I0+2+0+0:vgprValuA_X2_I0+2+0+0+1], a[4:7]
/*  mfmaIndex:114  */
/* localReadsVacancy: latencyLeft 2 */
	;; [unrolled: 3-line block ×55, first 2 shown]
v_mfma_f32_16x16x16_f16 a[196+0:199+0], v[vgprValuB_X2_I0+14+0+0:vgprValuB_X2_I0+14+0+0+1], v[vgprValuA_X2_I0+0+0+0:vgprValuA_X2_I0+0+0+0+1], a[196:199]
/* numPrefetchIter=0 */
/* dataAtIterA=1 numReadsIterA=3 skipReadsIterA=1 readsPerIterA=7 */
/* dataAtIterB=1 numReadsIterB=3 skipReadsIterB=1 readsPerIterB=8 */


/* iter 3 (last unrolled loop) */

/*  grEndMfmaIndex:0, lwStartMfmaIndex:198, lwEndMfmaIndex:198  */
/*  numMfmaForLR:20, barrierMfmaIndex:203, LocalWritePerMfma:0.405 */
/*  mfmaIndex:168  */
s_waitcnt lgkmcnt(0)                               // lgkmcnt=0 vmcnt=-1wait for prior local read local write old=0, new=0 newLW=0 newLR=0
v_mfma_f32_16x16x16_f16 a[0+0:3+0], v[vgprValuB_X3_I0+0+0+0:vgprValuB_X3_I0+0+0+0+1], v[vgprValuA_X3_I0+0+0+0:vgprValuA_X3_I0+0+0+0+1], a[0:3]
/*  mfmaIndex:169  */
v_mfma_f32_16x16x16_f16 a[4+0:7+0], v[vgprValuB_X3_I0+0+0+0:vgprValuB_X3_I0+0+0+0+1], v[vgprValuA_X3_I0+2+0+0:vgprValuA_X3_I0+2+0+0+1], a[4:7]
/*  mfmaIndex:170  */
	;; [unrolled: 2-line block ×29, first 2 shown]
/* 1 LDS buffer: read-sync-write */
s_waitcnt lgkmcnt(0)                               // 
s_barrier                                          // 
v_mfma_f32_16x16x16_f16 a[116+0:119+0], v[vgprValuB_X3_I0+8+0+0:vgprValuB_X3_I0+8+0+0+1], v[vgprValuA_X3_I0+2+0+0:vgprValuA_X3_I0+2+0+0+1], a[116:119]
/*  mfmaIndex:198  */
s_setprio 3                                        // store optimization
v_mfma_f32_16x16x16_f16 a[120+0:123+0], v[vgprValuB_X3_I0+8+0+0:vgprValuB_X3_I0+8+0+0+1], v[vgprValuA_X3_I0+4+0+0:vgprValuA_X3_I0+4+0+0+1], a[120:123]
/*  mfmaIndex:199  */
v_mfma_f32_16x16x16_f16 a[124+0:127+0], v[vgprValuB_X3_I0+8+0+0:vgprValuB_X3_I0+8+0+0+1], v[vgprValuA_X3_I0+6+0+0:vgprValuA_X3_I0+6+0+0+1], a[124:127]
/*  mfmaIndex:200  */
	;; [unrolled: 2-line block ×4, first 2 shown]
v_mfma_f32_16x16x16_f16 a[136+0:139+0], v[vgprValuB_X3_I0+8+0+0:vgprValuB_X3_I0+8+0+0+1], v[vgprValuA_X3_I0+12+0+0:vgprValuA_X3_I0+12+0+0+1], a[136:139]
s_setprio 0                                        // store optimization
/*  mfmaIndex:203  */
v_mfma_f32_16x16x16_f16 a[164+0:167+0], v[vgprValuB_X3_I0+10+0+0:vgprValuB_X3_I0+10+0+0+1], v[vgprValuA_X3_I0+12+0+0:vgprValuA_X3_I0+12+0+0+1], a[164:167]
/*  mfmaIndex:204  */
s_setprio 3                                        // store optimization
v_mfma_f32_16x16x16_f16 a[160+0:163+0], v[vgprValuB_X3_I0+10+0+0:vgprValuB_X3_I0+10+0+0+1], v[vgprValuA_X3_I0+10+0+0:vgprValuA_X3_I0+10+0+0+1], a[160:163]
/*  mfmaIndex:205  */
v_mfma_f32_16x16x16_f16 a[156+0:159+0], v[vgprValuB_X3_I0+10+0+0:vgprValuB_X3_I0+10+0+0+1], v[vgprValuA_X3_I0+8+0+0:vgprValuA_X3_I0+8+0+0+1], a[156:159]
/*  mfmaIndex:206  */
	;; [unrolled: 2-line block ×19, first 2 shown]
v_mfma_f32_16x16x16_f16 a[196+0:199+0], v[vgprValuB_X3_I0+14+0+0:vgprValuB_X3_I0+14+0+0+1], v[vgprValuA_X3_I0+0+0+0:vgprValuA_X3_I0+0+0+0+1], a[196:199]
/* numPrefetchIter=0 */
/* dataAtIterA=2 numReadsIterA=3 skipReadsIterA=0 readsPerIterA=7 */
/* dataAtIterB=2 numReadsIterB=3 skipReadsIterB=0 readsPerIterB=8 */

/* Stores for OptNLL */
Summation_End_OptNLL_18:
s_setprio 0                                        // optimization store
/* endSummation: add vgpr [0...242) to pool */
.set NumFullBlocks, UNDEF
.set WgmRemainder1, UNDEF
.set MagicNumberWgmRemainder1, UNDEF

/* Mapping of Acc register -> C Vgpr register */
/* computeStoreVgprs */
v_lshrrev_b32 v4, 6, v[vgprSerial]                 // v4 = v[vgprSerial] / 64
v_and_b32 v1, 63, v[vgprSerial]                    // v1 = v[vgprSerial] % 64
v_lshrrev_b32 v1, 4, v1                            // v1 = v1 / 16
v_lshlrev_b32 v1, 0x2, v1                          // thread0 * continuous_output
v_lshrrev_b32 v5, 1, v4                            // v5 = v4 / 2
v_mul_lo_u32 v5, 0x10, v5                          // wave coordination offset 1
_v_add_lshl_u32 v1, v5, v1, 0                      // coordination 1 = vwb *(wave_id1 + tid1)
v_mul_lo_u32 v2, v1, s[sgprStrideC1J]              //  offset 1
v_mul_lo_u32 v3, v1, s[sgprStrideD1J]              //  offset 1
v_and_b32 v5, 1, v4                                // v5 = v4 % 2
v_mul_lo_u32 v5, 0x10, v5                          // wave coordination offset 0
v_and_b32 v0, 15, v[vgprSerial]                    // v0 = v[vgprSerial] % 16
_v_add_lshl_u32 v0, v5, v0, 0                      // coordination 0 = vwa *(wave_id0 + tid0)
s_mul_i32 s53, 224, s[sgprWorkGroup0]              // wgp0 * MT0
_v_add_u32 v0, s53, v0                             // coord 0 = (tid0/MI_m)*4 + waveG0*MIB_m + MT0*SG0
s_mul_i32 s53, 256, s[sgprWorkGroup1]              // wgp1 * MT1
_v_add_u32 v1, s53, v1                             // coord 1 = (tid0%MI_m) + waveG1*MIB_n + MT1*SG1
GW_B0_E0_21:

/* edge=0, allocate 2 sgpr. perBatchTmpS=2 perBatchMaskS=0 perElementMaskS=0 elementsPerBatch=244 */
/* optSingleColVgpr=1 optSharedColVgpr=0 optSGPRUsage=BufferLoad_Mask optSrdIncForRow=1 */
s_sleep 5 // optimization: sync and wait
s_barrier

/******************************************/
/* Global Write Batch #0 (d1,d0,vc1,vc0) = */
/*    (0,0,0,0:vw1); (0,1,0,0:vw1); (0,2,0,0:vw1); (0,3,0,0:vw1); (0,4,0,0:vw1); (0,5,0,0:vw1); (0,6,0,0:vw1); (0,0,1,0:vw1); (0,1,1,0:vw1); (0,2,1,0:vw1); (0,3,1,0:vw1); (0,4,1,0:vw1); (0,5,1,0:vw1); (0,6,1,0:vw1); (0,0,2,0:vw1); (0,1,2,0:vw1); (0,2,2,0:vw1); (0,3,2,0:vw1); (0,4,2,0:vw1); (0,5,2,0:vw1); (0,6,2,0:vw1); (0,0,3,0:vw1); (0,1,3,0:vw1); (0,2,3,0:vw1); (0,3,3,0:vw1); (0,4,3,0:vw1); (0,5,3,0:vw1); (0,6,3,0:vw1); (1,0,0,0:vw1); (1,1,0,0:vw1); (1,2,0,0:vw1); (1,3,0,0:vw1); (1,4,0,0:vw1); (1,5,0,0:vw1); (1,6,0,0:vw1); (1,0,1,0:vw1); (1,1,1,0:vw1); (1,2,1,0:vw1); (1,3,1,0:vw1); (1,4,1,0:vw1); (1,5,1,0:vw1); (1,6,1,0:vw1); (1,0,2,0:vw1); (1,1,2,0:vw1); (1,2,2,0:vw1); (1,3,2,0:vw1); (1,4,2,0:vw1); (1,5,2,0:vw1); (1,6,2,0:vw1); (1,0,3,0:vw1); (1,1,3,0:vw1); (1,2,3,0:vw1); (1,3,3,0:vw1); (1,4,3,0:vw1); (1,5,3,0:vw1); (1,6,3,0:vw1); (2,0,0,0:vw1); (2,1,0,0:vw1); (2,2,0,0:vw1); (2,3,0,0:vw1); (2,4,0,0:vw1); (2,5,0,0:vw1); (2,6,0,0:vw1); (2,0,1,0:vw1); (2,1,1,0:vw1); (2,2,1,0:vw1); (2,3,1,0:vw1); (2,4,1,0:vw1); (2,5,1,0:vw1); (2,6,1,0:vw1); (2,0,2,0:vw1); (2,1,2,0:vw1); (2,2,2,0:vw1); (2,3,2,0:vw1); (2,4,2,0:vw1); (2,5,2,0:vw1); (2,6,2,0:vw1); (2,0,3,0:vw1); (2,1,3,0:vw1); (2,2,3,0:vw1); (2,3,3,0:vw1); (2,4,3,0:vw1); (2,5,3,0:vw1); (2,6,3,0:vw1); (3,0,0,0:vw1); (3,1,0,0:vw1); (3,2,0,0:vw1); (3,3,0,0:vw1); (3,4,0,0:vw1); (3,5,0,0:vw1); (3,6,0,0:vw1); (3,0,1,0:vw1); (3,1,1,0:vw1); (3,2,1,0:vw1); (3,3,1,0:vw1); (3,4,1,0:vw1); (3,5,1,0:vw1); (3,6,1,0:vw1); (3,0,2,0:vw1); (3,1,2,0:vw1); (3,2,2,0:vw1); (3,3,2,0:vw1); (3,4,2,0:vw1); (3,5,2,0:vw1); (3,6,2,0:vw1); (3,0,3,0:vw1); (3,1,3,0:vw1); (3,2,3,0:vw1); (3,3,3,0:vw1); (3,4,3,0:vw1); (3,5,3,0:vw1); (3,6,3,0:vw1); (4,0,0,0:vw1); (4,1,0,0:vw1); (4,2,0,0:vw1); (4,3,0,0:vw1); (4,4,0,0:vw1); (4,5,0,0:vw1); (4,6,0,0:vw1); (4,0,1,0:vw1); (4,1,1,0:vw1); (4,2,1,0:vw1); (4,3,1,0:vw1); (4,4,1,0:vw1); (4,5,1,0:vw1); (4,6,1,0:vw1); (4,0,2,0:vw1); (4,1,2,0:vw1); (4,2,2,0:vw1); (4,3,2,0:vw1); (4,4,2,0:vw1); (4,5,2,0:vw1); (4,6,2,0:vw1); (4,0,3,0:vw1); (4,1,3,0:vw1); (4,2,3,0:vw1); (4,3,3,0:vw1); (4,4,3,0:vw1); (4,5,3,0:vw1); (4,6,3,0:vw1); (5,0,0,0:vw1); (5,1,0,0:vw1); (5,2,0,0:vw1); (5,3,0,0:vw1); (5,4,0,0:vw1); (5,5,0,0:vw1); (5,6,0,0:vw1); (5,0,1,0:vw1); (5,1,1,0:vw1); (5,2,1,0:vw1); (5,3,1,0:vw1); (5,4,1,0:vw1); (5,5,1,0:vw1); (5,6,1,0:vw1); (5,0,2,0:vw1); (5,1,2,0:vw1); (5,2,2,0:vw1); (5,3,2,0:vw1); (5,4,2,0:vw1); (5,5,2,0:vw1); (5,6,2,0:vw1); (5,0,3,0:vw1); (5,1,3,0:vw1); (5,2,3,0:vw1); (5,3,3,0:vw1); (5,4,3,0:vw1); (5,5,3,0:vw1); (5,6,3,0:vw1); (6,0,0,0:vw1); (6,1,0,0:vw1); (6,2,0,0:vw1); (6,3,0,0:vw1); (6,4,0,0:vw1); (6,5,0,0:vw1); (6,6,0,0:vw1); (6,0,1,0:vw1); (6,1,1,0:vw1); (6,2,1,0:vw1); (6,3,1,0:vw1); (6,4,1,0:vw1); (6,5,1,0:vw1); (6,6,1,0:vw1); (6,0,2,0:vw1); (6,1,2,0:vw1); (6,2,2,0:vw1); (6,3,2,0:vw1); (6,4,2,0:vw1); (6,5,2,0:vw1); (6,6,2,0:vw1); (6,0,3,0:vw1); (6,1,3,0:vw1); (6,2,3,0:vw1); (6,3,3,0:vw1); (6,4,3,0:vw1); (6,5,3,0:vw1); (6,6,3,0:vw1); (7,0,0,0:vw1); (7,1,0,0:vw1); (7,2,0,0:vw1); (7,3,0,0:vw1); (7,4,0,0:vw1); (7,5,0,0:vw1); (7,6,0,0:vw1); (7,0,1,0:vw1); (7,1,1,0:vw1); (7,2,1,0:vw1); (7,3,1,0:vw1); (7,4,1,0:vw1); (7,5,1,0:vw1); (7,6,1,0:vw1); (7,0,2,0:vw1); (7,1,2,0:vw1); (7,2,2,0:vw1); (7,3,2,0:vw1); (7,4,2,0:vw1); (7,5,2,0:vw1); (7,6,2,0:vw1); (7,0,3,0:vw1); (7,1,3,0:vw1); (7,2,3,0:vw1); (7,3,3,0:vw1); (7,4,3,0:vw1); (7,5,3,0:vw1); (7,6,3,0:vw1) */
/******************************************/

/* calc coords, apply mask, and issue loads (if necessary) */
/* (d1,vc1,d0,vc0)=(0,0,0,0) */
/* (d1,vc1,d0,vc0)=(0,0,1,0) */
	;; [unrolled: 1-line block ×224, first 2 shown]
_v_add_lshl_u32 v6, v3, v0, 0x1                    // optSingleColVgpr scaleToBpe: sharedAddrVgpr <- cinRowPtr + coord0, scaled by BPE. BSHERE:coord0=0, coord0Vgpr=0
v_accvgpr_read_b32 v[vgprValuC+8], acc0 // copy acc to vreg[0]
v_accvgpr_read_b32 v[vgprValuC+9], acc4 // copy acc to vreg[1]
v_accvgpr_read_b32 v[vgprValuC+10], acc8 // copy acc to vreg[2]
v_accvgpr_read_b32 v[vgprValuC+11], acc12 // copy acc to vreg[3]
v_accvgpr_read_b32 v[vgprValuC+12], acc16 // copy acc to vreg[4]
v_accvgpr_read_b32 v[vgprValuC+13], acc20 // copy acc to vreg[5]
v_accvgpr_read_b32 v[vgprValuC+14], acc24 // copy acc to vreg[6]
v_accvgpr_read_b32 v[vgprValuC+15], acc1 // copy acc to vreg[7]
v_accvgpr_read_b32 v[vgprValuC+16], acc5 // copy acc to vreg[8]
v_accvgpr_read_b32 v[vgprValuC+17], acc9 // copy acc to vreg[9]
v_accvgpr_read_b32 v[vgprValuC+18], acc13 // copy acc to vreg[10]
v_accvgpr_read_b32 v[vgprValuC+19], acc17 // copy acc to vreg[11]
v_accvgpr_read_b32 v[vgprValuC+20], acc21 // copy acc to vreg[12]
v_accvgpr_read_b32 v[vgprValuC+21], acc25 // copy acc to vreg[13]
v_accvgpr_read_b32 v[vgprValuC+22], acc2 // copy acc to vreg[14]
v_accvgpr_read_b32 v[vgprValuC+23], acc6 // copy acc to vreg[15]
v_accvgpr_read_b32 v[vgprValuC+24], acc10 // copy acc to vreg[16]
v_accvgpr_read_b32 v[vgprValuC+25], acc14 // copy acc to vreg[17]
v_accvgpr_read_b32 v[vgprValuC+26], acc18 // copy acc to vreg[18]
v_accvgpr_read_b32 v[vgprValuC+27], acc22 // copy acc to vreg[19]
v_accvgpr_read_b32 v[vgprValuC+28], acc26 // copy acc to vreg[20]
v_accvgpr_read_b32 v[vgprValuC+29], acc3 // copy acc to vreg[21]
v_accvgpr_read_b32 v[vgprValuC+30], acc7 // copy acc to vreg[22]
v_accvgpr_read_b32 v[vgprValuC+31], acc11 // copy acc to vreg[23]
v_accvgpr_read_b32 v[vgprValuC+32], acc15 // copy acc to vreg[24]
v_accvgpr_read_b32 v[vgprValuC+33], acc19 // copy acc to vreg[25]
v_accvgpr_read_b32 v[vgprValuC+34], acc23 // copy acc to vreg[26]
v_accvgpr_read_b32 v[vgprValuC+35], acc27 // copy acc to vreg[27]
v_accvgpr_read_b32 v[vgprValuC+36], acc28 // copy acc to vreg[28]
v_accvgpr_read_b32 v[vgprValuC+37], acc32 // copy acc to vreg[29]
v_accvgpr_read_b32 v[vgprValuC+38], acc36 // copy acc to vreg[30]
v_accvgpr_read_b32 v[vgprValuC+39], acc40 // copy acc to vreg[31]
v_accvgpr_read_b32 v[vgprValuC+40], acc44 // copy acc to vreg[32]
v_accvgpr_read_b32 v[vgprValuC+41], acc48 // copy acc to vreg[33]
v_accvgpr_read_b32 v[vgprValuC+42], acc52 // copy acc to vreg[34]
v_accvgpr_read_b32 v[vgprValuC+43], acc29 // copy acc to vreg[35]
v_accvgpr_read_b32 v[vgprValuC+44], acc33 // copy acc to vreg[36]
v_accvgpr_read_b32 v[vgprValuC+45], acc37 // copy acc to vreg[37]
v_accvgpr_read_b32 v[vgprValuC+46], acc41 // copy acc to vreg[38]
v_accvgpr_read_b32 v[vgprValuC+47], acc45 // copy acc to vreg[39]
v_accvgpr_read_b32 v[vgprValuC+48], acc49 // copy acc to vreg[40]
v_accvgpr_read_b32 v[vgprValuC+49], acc53 // copy acc to vreg[41]
v_accvgpr_read_b32 v[vgprValuC+50], acc30 // copy acc to vreg[42]
v_accvgpr_read_b32 v[vgprValuC+51], acc34 // copy acc to vreg[43]
v_accvgpr_read_b32 v[vgprValuC+52], acc38 // copy acc to vreg[44]
v_accvgpr_read_b32 v[vgprValuC+53], acc42 // copy acc to vreg[45]
v_accvgpr_read_b32 v[vgprValuC+54], acc46 // copy acc to vreg[46]
v_accvgpr_read_b32 v[vgprValuC+55], acc50 // copy acc to vreg[47]
v_accvgpr_read_b32 v[vgprValuC+56], acc54 // copy acc to vreg[48]
v_accvgpr_read_b32 v[vgprValuC+57], acc31 // copy acc to vreg[49]
v_accvgpr_read_b32 v[vgprValuC+58], acc35 // copy acc to vreg[50]
v_accvgpr_read_b32 v[vgprValuC+59], acc39 // copy acc to vreg[51]
v_accvgpr_read_b32 v[vgprValuC+60], acc43 // copy acc to vreg[52]
v_accvgpr_read_b32 v[vgprValuC+61], acc47 // copy acc to vreg[53]
v_accvgpr_read_b32 v[vgprValuC+62], acc51 // copy acc to vreg[54]
v_accvgpr_read_b32 v[vgprValuC+63], acc55 // copy acc to vreg[55]
v_accvgpr_read_b32 v[vgprValuC+64], acc56 // copy acc to vreg[56]
v_accvgpr_read_b32 v[vgprValuC+65], acc60 // copy acc to vreg[57]
v_accvgpr_read_b32 v[vgprValuC+66], acc64 // copy acc to vreg[58]
v_accvgpr_read_b32 v[vgprValuC+67], acc68 // copy acc to vreg[59]
v_accvgpr_read_b32 v[vgprValuC+68], acc72 // copy acc to vreg[60]
v_accvgpr_read_b32 v[vgprValuC+69], acc76 // copy acc to vreg[61]
v_accvgpr_read_b32 v[vgprValuC+70], acc80 // copy acc to vreg[62]
v_accvgpr_read_b32 v[vgprValuC+71], acc57 // copy acc to vreg[63]
v_accvgpr_read_b32 v[vgprValuC+72], acc61 // copy acc to vreg[64]
v_accvgpr_read_b32 v[vgprValuC+73], acc65 // copy acc to vreg[65]
v_accvgpr_read_b32 v[vgprValuC+74], acc69 // copy acc to vreg[66]
v_accvgpr_read_b32 v[vgprValuC+75], acc73 // copy acc to vreg[67]
v_accvgpr_read_b32 v[vgprValuC+76], acc77 // copy acc to vreg[68]
v_accvgpr_read_b32 v[vgprValuC+77], acc81 // copy acc to vreg[69]
v_accvgpr_read_b32 v[vgprValuC+78], acc58 // copy acc to vreg[70]
v_accvgpr_read_b32 v[vgprValuC+79], acc62 // copy acc to vreg[71]
v_accvgpr_read_b32 v[vgprValuC+80], acc66 // copy acc to vreg[72]
v_accvgpr_read_b32 v[vgprValuC+81], acc70 // copy acc to vreg[73]
v_accvgpr_read_b32 v[vgprValuC+82], acc74 // copy acc to vreg[74]
v_accvgpr_read_b32 v[vgprValuC+83], acc78 // copy acc to vreg[75]
v_accvgpr_read_b32 v[vgprValuC+84], acc82 // copy acc to vreg[76]
v_accvgpr_read_b32 v[vgprValuC+85], acc59 // copy acc to vreg[77]
v_accvgpr_read_b32 v[vgprValuC+86], acc63 // copy acc to vreg[78]
v_accvgpr_read_b32 v[vgprValuC+87], acc67 // copy acc to vreg[79]
v_accvgpr_read_b32 v[vgprValuC+88], acc71 // copy acc to vreg[80]
v_accvgpr_read_b32 v[vgprValuC+89], acc75 // copy acc to vreg[81]
v_accvgpr_read_b32 v[vgprValuC+90], acc79 // copy acc to vreg[82]
v_accvgpr_read_b32 v[vgprValuC+91], acc83 // copy acc to vreg[83]
v_accvgpr_read_b32 v[vgprValuC+92], acc84 // copy acc to vreg[84]
v_accvgpr_read_b32 v[vgprValuC+93], acc88 // copy acc to vreg[85]
v_accvgpr_read_b32 v[vgprValuC+94], acc92 // copy acc to vreg[86]
v_accvgpr_read_b32 v[vgprValuC+95], acc96 // copy acc to vreg[87]
v_accvgpr_read_b32 v[vgprValuC+96], acc100 // copy acc to vreg[88]
v_accvgpr_read_b32 v[vgprValuC+97], acc104 // copy acc to vreg[89]
v_accvgpr_read_b32 v[vgprValuC+98], acc108 // copy acc to vreg[90]
v_accvgpr_read_b32 v[vgprValuC+99], acc85 // copy acc to vreg[91]
v_accvgpr_read_b32 v[vgprValuC+100], acc89 // copy acc to vreg[92]
v_accvgpr_read_b32 v[vgprValuC+101], acc93 // copy acc to vreg[93]
v_accvgpr_read_b32 v[vgprValuC+102], acc97 // copy acc to vreg[94]
v_accvgpr_read_b32 v[vgprValuC+103], acc101 // copy acc to vreg[95]
v_accvgpr_read_b32 v[vgprValuC+104], acc105 // copy acc to vreg[96]
v_accvgpr_read_b32 v[vgprValuC+105], acc109 // copy acc to vreg[97]
v_accvgpr_read_b32 v[vgprValuC+106], acc86 // copy acc to vreg[98]
v_accvgpr_read_b32 v[vgprValuC+107], acc90 // copy acc to vreg[99]
v_accvgpr_read_b32 v[vgprValuC+108], acc94 // copy acc to vreg[100]
v_accvgpr_read_b32 v[vgprValuC+109], acc98 // copy acc to vreg[101]
v_accvgpr_read_b32 v[vgprValuC+110], acc102 // copy acc to vreg[102]
v_accvgpr_read_b32 v[vgprValuC+111], acc106 // copy acc to vreg[103]
v_accvgpr_read_b32 v[vgprValuC+112], acc110 // copy acc to vreg[104]
v_accvgpr_read_b32 v[vgprValuC+113], acc87 // copy acc to vreg[105]
v_accvgpr_read_b32 v[vgprValuC+114], acc91 // copy acc to vreg[106]
v_accvgpr_read_b32 v[vgprValuC+115], acc95 // copy acc to vreg[107]
v_accvgpr_read_b32 v[vgprValuC+116], acc99 // copy acc to vreg[108]
v_accvgpr_read_b32 v[vgprValuC+117], acc103 // copy acc to vreg[109]
v_accvgpr_read_b32 v[vgprValuC+118], acc107 // copy acc to vreg[110]
v_accvgpr_read_b32 v[vgprValuC+119], acc111 // copy acc to vreg[111]
v_accvgpr_read_b32 v[vgprValuC+120], acc112 // copy acc to vreg[112]
v_accvgpr_read_b32 v[vgprValuC+121], acc116 // copy acc to vreg[113]
v_accvgpr_read_b32 v[vgprValuC+122], acc120 // copy acc to vreg[114]
v_accvgpr_read_b32 v[vgprValuC+123], acc124 // copy acc to vreg[115]
v_accvgpr_read_b32 v[vgprValuC+124], acc128 // copy acc to vreg[116]
v_accvgpr_read_b32 v[vgprValuC+125], acc132 // copy acc to vreg[117]
v_accvgpr_read_b32 v[vgprValuC+126], acc136 // copy acc to vreg[118]
v_accvgpr_read_b32 v[vgprValuC+127], acc113 // copy acc to vreg[119]
v_accvgpr_read_b32 v[vgprValuC+128], acc117 // copy acc to vreg[120]
v_accvgpr_read_b32 v[vgprValuC+129], acc121 // copy acc to vreg[121]
v_accvgpr_read_b32 v[vgprValuC+130], acc125 // copy acc to vreg[122]
v_accvgpr_read_b32 v[vgprValuC+131], acc129 // copy acc to vreg[123]
v_accvgpr_read_b32 v[vgprValuC+132], acc133 // copy acc to vreg[124]
v_accvgpr_read_b32 v[vgprValuC+133], acc137 // copy acc to vreg[125]
v_accvgpr_read_b32 v[vgprValuC+134], acc114 // copy acc to vreg[126]
v_accvgpr_read_b32 v[vgprValuC+135], acc118 // copy acc to vreg[127]
v_accvgpr_read_b32 v[vgprValuC+136], acc122 // copy acc to vreg[128]
v_accvgpr_read_b32 v[vgprValuC+137], acc126 // copy acc to vreg[129]
v_accvgpr_read_b32 v[vgprValuC+138], acc130 // copy acc to vreg[130]
v_accvgpr_read_b32 v[vgprValuC+139], acc134 // copy acc to vreg[131]
v_accvgpr_read_b32 v[vgprValuC+140], acc138 // copy acc to vreg[132]
v_accvgpr_read_b32 v[vgprValuC+141], acc115 // copy acc to vreg[133]
v_accvgpr_read_b32 v[vgprValuC+142], acc119 // copy acc to vreg[134]
v_accvgpr_read_b32 v[vgprValuC+143], acc123 // copy acc to vreg[135]
v_accvgpr_read_b32 v[vgprValuC+144], acc127 // copy acc to vreg[136]
v_accvgpr_read_b32 v[vgprValuC+145], acc131 // copy acc to vreg[137]
v_accvgpr_read_b32 v[vgprValuC+146], acc135 // copy acc to vreg[138]
v_accvgpr_read_b32 v[vgprValuC+147], acc139 // copy acc to vreg[139]
v_accvgpr_read_b32 v[vgprValuC+148], acc140 // copy acc to vreg[140]
v_accvgpr_read_b32 v[vgprValuC+149], acc144 // copy acc to vreg[141]
v_accvgpr_read_b32 v[vgprValuC+150], acc148 // copy acc to vreg[142]
v_accvgpr_read_b32 v[vgprValuC+151], acc152 // copy acc to vreg[143]
v_accvgpr_read_b32 v[vgprValuC+152], acc156 // copy acc to vreg[144]
v_accvgpr_read_b32 v[vgprValuC+153], acc160 // copy acc to vreg[145]
v_accvgpr_read_b32 v[vgprValuC+154], acc164 // copy acc to vreg[146]
v_accvgpr_read_b32 v[vgprValuC+155], acc141 // copy acc to vreg[147]
v_accvgpr_read_b32 v[vgprValuC+156], acc145 // copy acc to vreg[148]
v_accvgpr_read_b32 v[vgprValuC+157], acc149 // copy acc to vreg[149]
v_accvgpr_read_b32 v[vgprValuC+158], acc153 // copy acc to vreg[150]
v_accvgpr_read_b32 v[vgprValuC+159], acc157 // copy acc to vreg[151]
v_accvgpr_read_b32 v[vgprValuC+160], acc161 // copy acc to vreg[152]
v_accvgpr_read_b32 v[vgprValuC+161], acc165 // copy acc to vreg[153]
v_accvgpr_read_b32 v[vgprValuC+162], acc142 // copy acc to vreg[154]
v_accvgpr_read_b32 v[vgprValuC+163], acc146 // copy acc to vreg[155]
v_accvgpr_read_b32 v[vgprValuC+164], acc150 // copy acc to vreg[156]
v_accvgpr_read_b32 v[vgprValuC+165], acc154 // copy acc to vreg[157]
v_accvgpr_read_b32 v[vgprValuC+166], acc158 // copy acc to vreg[158]
v_accvgpr_read_b32 v[vgprValuC+167], acc162 // copy acc to vreg[159]
v_accvgpr_read_b32 v[vgprValuC+168], acc166 // copy acc to vreg[160]
v_accvgpr_read_b32 v[vgprValuC+169], acc143 // copy acc to vreg[161]
v_accvgpr_read_b32 v[vgprValuC+170], acc147 // copy acc to vreg[162]
v_accvgpr_read_b32 v[vgprValuC+171], acc151 // copy acc to vreg[163]
v_accvgpr_read_b32 v[vgprValuC+172], acc155 // copy acc to vreg[164]
v_accvgpr_read_b32 v[vgprValuC+173], acc159 // copy acc to vreg[165]
v_accvgpr_read_b32 v[vgprValuC+174], acc163 // copy acc to vreg[166]
v_accvgpr_read_b32 v[vgprValuC+175], acc167 // copy acc to vreg[167]
v_accvgpr_read_b32 v[vgprValuC+176], acc168 // copy acc to vreg[168]
v_accvgpr_read_b32 v[vgprValuC+177], acc172 // copy acc to vreg[169]
v_accvgpr_read_b32 v[vgprValuC+178], acc176 // copy acc to vreg[170]
v_accvgpr_read_b32 v[vgprValuC+179], acc180 // copy acc to vreg[171]
v_accvgpr_read_b32 v[vgprValuC+180], acc184 // copy acc to vreg[172]
v_accvgpr_read_b32 v[vgprValuC+181], acc188 // copy acc to vreg[173]
v_accvgpr_read_b32 v[vgprValuC+182], acc192 // copy acc to vreg[174]
v_accvgpr_read_b32 v[vgprValuC+183], acc169 // copy acc to vreg[175]
v_accvgpr_read_b32 v[vgprValuC+184], acc173 // copy acc to vreg[176]
v_accvgpr_read_b32 v[vgprValuC+185], acc177 // copy acc to vreg[177]
v_accvgpr_read_b32 v[vgprValuC+186], acc181 // copy acc to vreg[178]
v_accvgpr_read_b32 v[vgprValuC+187], acc185 // copy acc to vreg[179]
v_accvgpr_read_b32 v[vgprValuC+188], acc189 // copy acc to vreg[180]
v_accvgpr_read_b32 v[vgprValuC+189], acc193 // copy acc to vreg[181]
v_accvgpr_read_b32 v[vgprValuC+190], acc170 // copy acc to vreg[182]
v_accvgpr_read_b32 v[vgprValuC+191], acc174 // copy acc to vreg[183]
v_accvgpr_read_b32 v[vgprValuC+192], acc178 // copy acc to vreg[184]
v_accvgpr_read_b32 v[vgprValuC+193], acc182 // copy acc to vreg[185]
v_accvgpr_read_b32 v[vgprValuC+194], acc186 // copy acc to vreg[186]
v_accvgpr_read_b32 v[vgprValuC+195], acc190 // copy acc to vreg[187]
v_accvgpr_read_b32 v[vgprValuC+196], acc194 // copy acc to vreg[188]
v_accvgpr_read_b32 v[vgprValuC+197], acc171 // copy acc to vreg[189]
v_accvgpr_read_b32 v[vgprValuC+198], acc175 // copy acc to vreg[190]
v_accvgpr_read_b32 v[vgprValuC+199], acc179 // copy acc to vreg[191]
v_accvgpr_read_b32 v[vgprValuC+200], acc183 // copy acc to vreg[192]
v_accvgpr_read_b32 v[vgprValuC+201], acc187 // copy acc to vreg[193]
v_accvgpr_read_b32 v[vgprValuC+202], acc191 // copy acc to vreg[194]
v_accvgpr_read_b32 v[vgprValuC+203], acc195 // copy acc to vreg[195]
v_accvgpr_read_b32 v[vgprValuC+204], acc196 // copy acc to vreg[196]
v_accvgpr_read_b32 v[vgprValuC+205], acc200 // copy acc to vreg[197]
v_accvgpr_read_b32 v[vgprValuC+206], acc204 // copy acc to vreg[198]
v_accvgpr_read_b32 v[vgprValuC+207], acc208 // copy acc to vreg[199]
v_accvgpr_read_b32 v[vgprValuC+208], acc212 // copy acc to vreg[200]
v_accvgpr_read_b32 v[vgprValuC+209], acc216 // copy acc to vreg[201]
v_accvgpr_read_b32 v[vgprValuC+210], acc220 // copy acc to vreg[202]
v_accvgpr_read_b32 v[vgprValuC+211], acc197 // copy acc to vreg[203]
v_accvgpr_read_b32 v[vgprValuC+212], acc201 // copy acc to vreg[204]
v_accvgpr_read_b32 v[vgprValuC+213], acc205 // copy acc to vreg[205]
v_accvgpr_read_b32 v[vgprValuC+214], acc209 // copy acc to vreg[206]
v_accvgpr_read_b32 v[vgprValuC+215], acc213 // copy acc to vreg[207]
v_accvgpr_read_b32 v[vgprValuC+216], acc217 // copy acc to vreg[208]
v_accvgpr_read_b32 v[vgprValuC+217], acc221 // copy acc to vreg[209]
v_accvgpr_read_b32 v[vgprValuC+218], acc198 // copy acc to vreg[210]
v_accvgpr_read_b32 v[vgprValuC+219], acc202 // copy acc to vreg[211]
v_accvgpr_read_b32 v[vgprValuC+220], acc206 // copy acc to vreg[212]
v_accvgpr_read_b32 v[vgprValuC+221], acc210 // copy acc to vreg[213]
v_accvgpr_read_b32 v[vgprValuC+222], acc214 // copy acc to vreg[214]
v_accvgpr_read_b32 v[vgprValuC+223], acc218 // copy acc to vreg[215]
v_accvgpr_read_b32 v[vgprValuC+224], acc222 // copy acc to vreg[216]
v_accvgpr_read_b32 v[vgprValuC+225], acc199 // copy acc to vreg[217]
v_accvgpr_read_b32 v[vgprValuC+226], acc203 // copy acc to vreg[218]
v_accvgpr_read_b32 v[vgprValuC+227], acc207 // copy acc to vreg[219]
v_accvgpr_read_b32 v[vgprValuC+228], acc211 // copy acc to vreg[220]
v_accvgpr_read_b32 v[vgprValuC+229], acc215 // copy acc to vreg[221]
v_accvgpr_read_b32 v[vgprValuC+230], acc219 // copy acc to vreg[222]
v_accvgpr_read_b32 v[vgprValuC+231], acc223 // copy acc to vreg[223]
s_nop 1                                            // 2 wait states required before reading vgpr

/* apply mask, calc new C and issue writes */
v_cvt_f16_f32 v[vgprValuC+8], v[vgprValuC+8]       // convert C to fp16
_buffer_store_b16 v8, v6, s[sgprSrdD:sgprSrdD+3], 0, offen, offset:0,  sc0 sc1 // store D
v_cvt_f16_f32 v[vgprValuC+9], v[vgprValuC+9]       // convert C to fp16
_buffer_store_b16 v9, v6, s[sgprSrdD:sgprSrdD+3], 0, offen, offset:64,  sc0 sc1 // store D
v_cvt_f16_f32 v[vgprValuC+10], v[vgprValuC+10]     // convert C to fp16
_buffer_store_b16 v10, v6, s[sgprSrdD:sgprSrdD+3], 0, offen, offset:128,  sc0 sc1 // store D
v_cvt_f16_f32 v[vgprValuC+11], v[vgprValuC+11]     // convert C to fp16
_buffer_store_b16 v11, v6, s[sgprSrdD:sgprSrdD+3], 0, offen, offset:192,  sc0 sc1 // store D
v_cvt_f16_f32 v[vgprValuC+12], v[vgprValuC+12]     // convert C to fp16
_buffer_store_b16 v12, v6, s[sgprSrdD:sgprSrdD+3], 0, offen, offset:256,  sc0 sc1 // store D
v_cvt_f16_f32 v[vgprValuC+13], v[vgprValuC+13]     // convert C to fp16
_buffer_store_b16 v13, v6, s[sgprSrdD:sgprSrdD+3], 0, offen, offset:320,  sc0 sc1 // store D
v_cvt_f16_f32 v[vgprValuC+14], v[vgprValuC+14]     // convert C to fp16
_buffer_store_b16 v14, v6, s[sgprSrdD:sgprSrdD+3], 0, offen, offset:384,  sc0 sc1 // store D
v_cvt_f16_f32 v[vgprValuC+15], v[vgprValuC+15]     // convert C to fp16
s_lshl_b32  s54, s[sgprStrideD1J], 1               // incToNextRow: Scale by BPE
s_add_u32  s[sgprSrdD+0], s[sgprSrdD+0], s54       // incToNextRow: gra SRD += inc(lower)
s_addc_u32  s[sgprSrdD+1], s[sgprSrdD+1], 0        // incToNextRow: gra SRD += inc(upper)
_buffer_store_b16 v15, v6, s[sgprSrdD:sgprSrdD+3], 0, offen, offset:0,  sc0 sc1 // store D
v_cvt_f16_f32 v[vgprValuC+16], v[vgprValuC+16]     // convert C to fp16
_buffer_store_b16 v16, v6, s[sgprSrdD:sgprSrdD+3], 0, offen, offset:64,  sc0 sc1 // store D
v_cvt_f16_f32 v[vgprValuC+17], v[vgprValuC+17]     // convert C to fp16
_buffer_store_b16 v17, v6, s[sgprSrdD:sgprSrdD+3], 0, offen, offset:128,  sc0 sc1 // store D
v_cvt_f16_f32 v[vgprValuC+18], v[vgprValuC+18]     // convert C to fp16
_buffer_store_b16 v18, v6, s[sgprSrdD:sgprSrdD+3], 0, offen, offset:192,  sc0 sc1 // store D
v_cvt_f16_f32 v[vgprValuC+19], v[vgprValuC+19]     // convert C to fp16
_buffer_store_b16 v19, v6, s[sgprSrdD:sgprSrdD+3], 0, offen, offset:256,  sc0 sc1 // store D
v_cvt_f16_f32 v[vgprValuC+20], v[vgprValuC+20]     // convert C to fp16
_buffer_store_b16 v20, v6, s[sgprSrdD:sgprSrdD+3], 0, offen, offset:320,  sc0 sc1 // store D
v_cvt_f16_f32 v[vgprValuC+21], v[vgprValuC+21]     // convert C to fp16
_buffer_store_b16 v21, v6, s[sgprSrdD:sgprSrdD+3], 0, offen, offset:384,  sc0 sc1 // store D
v_cvt_f16_f32 v[vgprValuC+22], v[vgprValuC+22]     // convert C to fp16
s_lshl_b32  s54, s[sgprStrideD1J], 1               // incToNextRow: Scale by BPE
s_add_u32  s[sgprSrdD+0], s[sgprSrdD+0], s54       // incToNextRow: gra SRD += inc(lower)
s_addc_u32  s[sgprSrdD+1], s[sgprSrdD+1], 0        // incToNextRow: gra SRD += inc(upper)
_buffer_store_b16 v22, v6, s[sgprSrdD:sgprSrdD+3], 0, offen, offset:0,  sc0 sc1 // store D
v_cvt_f16_f32 v[vgprValuC+23], v[vgprValuC+23]     // convert C to fp16
	;; [unrolled: 17-line block ×3, first 2 shown]
_buffer_store_b16 v30, v6, s[sgprSrdD:sgprSrdD+3], 0, offen, offset:64,  sc0 sc1 // store D
v_cvt_f16_f32 v[vgprValuC+31], v[vgprValuC+31]     // convert C to fp16
_buffer_store_b16 v31, v6, s[sgprSrdD:sgprSrdD+3], 0, offen, offset:128,  sc0 sc1 // store D
v_cvt_f16_f32 v[vgprValuC+32], v[vgprValuC+32]     // convert C to fp16
	;; [unrolled: 2-line block ×6, first 2 shown]
s_mul_i32 s54, s[sgprStrideD1J], 58                // scale StrideD *= numRows(29) * bpe
s_add_u32  s[sgprSrdD+0], s[sgprSrdD+0], s54       // incToNextRow: gra SRD += inc(lower)
s_addc_u32  s[sgprSrdD+1], s[sgprSrdD+1], 0        // incToNextRow: gra SRD += inc(upper)
_buffer_store_b16 v36, v6, s[sgprSrdD:sgprSrdD+3], 0, offen, offset:0,  sc0 sc1 // store D
v_cvt_f16_f32 v[vgprValuC+37], v[vgprValuC+37]     // convert C to fp16
_buffer_store_b16 v37, v6, s[sgprSrdD:sgprSrdD+3], 0, offen, offset:64,  sc0 sc1 // store D
v_cvt_f16_f32 v[vgprValuC+38], v[vgprValuC+38]     // convert C to fp16
_buffer_store_b16 v38, v6, s[sgprSrdD:sgprSrdD+3], 0, offen, offset:128,  sc0 sc1 // store D
v_cvt_f16_f32 v[vgprValuC+39], v[vgprValuC+39]     // convert C to fp16
_buffer_store_b16 v39, v6, s[sgprSrdD:sgprSrdD+3], 0, offen, offset:192,  sc0 sc1 // store D
v_cvt_f16_f32 v[vgprValuC+40], v[vgprValuC+40]     // convert C to fp16
_buffer_store_b16 v40, v6, s[sgprSrdD:sgprSrdD+3], 0, offen, offset:256,  sc0 sc1 // store D
v_cvt_f16_f32 v[vgprValuC+41], v[vgprValuC+41]     // convert C to fp16
_buffer_store_b16 v41, v6, s[sgprSrdD:sgprSrdD+3], 0, offen, offset:320,  sc0 sc1 // store D
v_cvt_f16_f32 v[vgprValuC+42], v[vgprValuC+42]     // convert C to fp16
_buffer_store_b16 v42, v6, s[sgprSrdD:sgprSrdD+3], 0, offen, offset:384,  sc0 sc1 // store D
v_cvt_f16_f32 v[vgprValuC+43], v[vgprValuC+43]     // convert C to fp16
s_lshl_b32  s54, s[sgprStrideD1J], 1               // incToNextRow: Scale by BPE
s_add_u32  s[sgprSrdD+0], s[sgprSrdD+0], s54       // incToNextRow: gra SRD += inc(lower)
s_addc_u32  s[sgprSrdD+1], s[sgprSrdD+1], 0        // incToNextRow: gra SRD += inc(upper)
_buffer_store_b16 v43, v6, s[sgprSrdD:sgprSrdD+3], 0, offen, offset:0,  sc0 sc1 // store D
v_cvt_f16_f32 v[vgprValuC+44], v[vgprValuC+44]     // convert C to fp16
_buffer_store_b16 v44, v6, s[sgprSrdD:sgprSrdD+3], 0, offen, offset:64,  sc0 sc1 // store D
v_cvt_f16_f32 v[vgprValuC+45], v[vgprValuC+45]     // convert C to fp16
_buffer_store_b16 v45, v6, s[sgprSrdD:sgprSrdD+3], 0, offen, offset:128,  sc0 sc1 // store D
v_cvt_f16_f32 v[vgprValuC+46], v[vgprValuC+46]     // convert C to fp16
_buffer_store_b16 v46, v6, s[sgprSrdD:sgprSrdD+3], 0, offen, offset:192,  sc0 sc1 // store D
v_cvt_f16_f32 v[vgprValuC+47], v[vgprValuC+47]     // convert C to fp16
_buffer_store_b16 v47, v6, s[sgprSrdD:sgprSrdD+3], 0, offen, offset:256,  sc0 sc1 // store D
v_cvt_f16_f32 v[vgprValuC+48], v[vgprValuC+48]     // convert C to fp16
_buffer_store_b16 v48, v6, s[sgprSrdD:sgprSrdD+3], 0, offen, offset:320,  sc0 sc1 // store D
v_cvt_f16_f32 v[vgprValuC+49], v[vgprValuC+49]     // convert C to fp16
_buffer_store_b16 v49, v6, s[sgprSrdD:sgprSrdD+3], 0, offen, offset:384,  sc0 sc1 // store D
v_cvt_f16_f32 v[vgprValuC+50], v[vgprValuC+50]     // convert C to fp16
s_lshl_b32  s54, s[sgprStrideD1J], 1               // incToNextRow: Scale by BPE
	;; [unrolled: 17-line block ×3, first 2 shown]
s_add_u32  s[sgprSrdD+0], s[sgprSrdD+0], s54       // incToNextRow: gra SRD += inc(lower)
s_addc_u32  s[sgprSrdD+1], s[sgprSrdD+1], 0        // incToNextRow: gra SRD += inc(upper)
_buffer_store_b16 v57, v6, s[sgprSrdD:sgprSrdD+3], 0, offen, offset:0,  sc0 sc1 // store D
v_cvt_f16_f32 v[vgprValuC+58], v[vgprValuC+58]     // convert C to fp16
_buffer_store_b16 v58, v6, s[sgprSrdD:sgprSrdD+3], 0, offen, offset:64,  sc0 sc1 // store D
v_cvt_f16_f32 v[vgprValuC+59], v[vgprValuC+59]     // convert C to fp16
	;; [unrolled: 2-line block ×7, first 2 shown]
s_mul_i32 s54, s[sgprStrideD1J], 58                // scale StrideD *= numRows(29) * bpe
s_add_u32  s[sgprSrdD+0], s[sgprSrdD+0], s54       // incToNextRow: gra SRD += inc(lower)
s_addc_u32  s[sgprSrdD+1], s[sgprSrdD+1], 0        // incToNextRow: gra SRD += inc(upper)
_buffer_store_b16 v64, v6, s[sgprSrdD:sgprSrdD+3], 0, offen, offset:0,  sc0 sc1 // store D
v_cvt_f16_f32 v[vgprValuC+65], v[vgprValuC+65]     // convert C to fp16
_buffer_store_b16 v65, v6, s[sgprSrdD:sgprSrdD+3], 0, offen, offset:64,  sc0 sc1 // store D
v_cvt_f16_f32 v[vgprValuC+66], v[vgprValuC+66]     // convert C to fp16
_buffer_store_b16 v66, v6, s[sgprSrdD:sgprSrdD+3], 0, offen, offset:128,  sc0 sc1 // store D
v_cvt_f16_f32 v[vgprValuC+67], v[vgprValuC+67]     // convert C to fp16
_buffer_store_b16 v67, v6, s[sgprSrdD:sgprSrdD+3], 0, offen, offset:192,  sc0 sc1 // store D
v_cvt_f16_f32 v[vgprValuC+68], v[vgprValuC+68]     // convert C to fp16
_buffer_store_b16 v68, v6, s[sgprSrdD:sgprSrdD+3], 0, offen, offset:256,  sc0 sc1 // store D
v_cvt_f16_f32 v[vgprValuC+69], v[vgprValuC+69]     // convert C to fp16
_buffer_store_b16 v69, v6, s[sgprSrdD:sgprSrdD+3], 0, offen, offset:320,  sc0 sc1 // store D
v_cvt_f16_f32 v[vgprValuC+70], v[vgprValuC+70]     // convert C to fp16
_buffer_store_b16 v70, v6, s[sgprSrdD:sgprSrdD+3], 0, offen, offset:384,  sc0 sc1 // store D
v_cvt_f16_f32 v[vgprValuC+71], v[vgprValuC+71]     // convert C to fp16
s_lshl_b32  s54, s[sgprStrideD1J], 1               // incToNextRow: Scale by BPE
s_add_u32  s[sgprSrdD+0], s[sgprSrdD+0], s54       // incToNextRow: gra SRD += inc(lower)
s_addc_u32  s[sgprSrdD+1], s[sgprSrdD+1], 0        // incToNextRow: gra SRD += inc(upper)
_buffer_store_b16 v71, v6, s[sgprSrdD:sgprSrdD+3], 0, offen, offset:0,  sc0 sc1 // store D
v_cvt_f16_f32 v[vgprValuC+72], v[vgprValuC+72]     // convert C to fp16
_buffer_store_b16 v72, v6, s[sgprSrdD:sgprSrdD+3], 0, offen, offset:64,  sc0 sc1 // store D
v_cvt_f16_f32 v[vgprValuC+73], v[vgprValuC+73]     // convert C to fp16
_buffer_store_b16 v73, v6, s[sgprSrdD:sgprSrdD+3], 0, offen, offset:128,  sc0 sc1 // store D
v_cvt_f16_f32 v[vgprValuC+74], v[vgprValuC+74]     // convert C to fp16
_buffer_store_b16 v74, v6, s[sgprSrdD:sgprSrdD+3], 0, offen, offset:192,  sc0 sc1 // store D
v_cvt_f16_f32 v[vgprValuC+75], v[vgprValuC+75]     // convert C to fp16
_buffer_store_b16 v75, v6, s[sgprSrdD:sgprSrdD+3], 0, offen, offset:256,  sc0 sc1 // store D
v_cvt_f16_f32 v[vgprValuC+76], v[vgprValuC+76]     // convert C to fp16
_buffer_store_b16 v76, v6, s[sgprSrdD:sgprSrdD+3], 0, offen, offset:320,  sc0 sc1 // store D
v_cvt_f16_f32 v[vgprValuC+77], v[vgprValuC+77]     // convert C to fp16
_buffer_store_b16 v77, v6, s[sgprSrdD:sgprSrdD+3], 0, offen, offset:384,  sc0 sc1 // store D
v_cvt_f16_f32 v[vgprValuC+78], v[vgprValuC+78]     // convert C to fp16
s_lshl_b32  s54, s[sgprStrideD1J], 1               // incToNextRow: Scale by BPE
	;; [unrolled: 17-line block ×3, first 2 shown]
s_add_u32  s[sgprSrdD+0], s[sgprSrdD+0], s54       // incToNextRow: gra SRD += inc(lower)
s_addc_u32  s[sgprSrdD+1], s[sgprSrdD+1], 0        // incToNextRow: gra SRD += inc(upper)
_buffer_store_b16 v85, v6, s[sgprSrdD:sgprSrdD+3], 0, offen, offset:0,  sc0 sc1 // store D
v_cvt_f16_f32 v[vgprValuC+86], v[vgprValuC+86]     // convert C to fp16
_buffer_store_b16 v86, v6, s[sgprSrdD:sgprSrdD+3], 0, offen, offset:64,  sc0 sc1 // store D
v_cvt_f16_f32 v[vgprValuC+87], v[vgprValuC+87]     // convert C to fp16
	;; [unrolled: 2-line block ×7, first 2 shown]
s_mul_i32 s54, s[sgprStrideD1J], 58                // scale StrideD *= numRows(29) * bpe
s_add_u32  s[sgprSrdD+0], s[sgprSrdD+0], s54       // incToNextRow: gra SRD += inc(lower)
s_addc_u32  s[sgprSrdD+1], s[sgprSrdD+1], 0        // incToNextRow: gra SRD += inc(upper)
_buffer_store_b16 v92, v6, s[sgprSrdD:sgprSrdD+3], 0, offen, offset:0,  sc0 sc1 // store D
v_cvt_f16_f32 v[vgprValuC+93], v[vgprValuC+93]     // convert C to fp16
_buffer_store_b16 v93, v6, s[sgprSrdD:sgprSrdD+3], 0, offen, offset:64,  sc0 sc1 // store D
v_cvt_f16_f32 v[vgprValuC+94], v[vgprValuC+94]     // convert C to fp16
_buffer_store_b16 v94, v6, s[sgprSrdD:sgprSrdD+3], 0, offen, offset:128,  sc0 sc1 // store D
v_cvt_f16_f32 v[vgprValuC+95], v[vgprValuC+95]     // convert C to fp16
_buffer_store_b16 v95, v6, s[sgprSrdD:sgprSrdD+3], 0, offen, offset:192,  sc0 sc1 // store D
v_cvt_f16_f32 v[vgprValuC+96], v[vgprValuC+96]     // convert C to fp16
_buffer_store_b16 v96, v6, s[sgprSrdD:sgprSrdD+3], 0, offen, offset:256,  sc0 sc1 // store D
v_cvt_f16_f32 v[vgprValuC+97], v[vgprValuC+97]     // convert C to fp16
_buffer_store_b16 v97, v6, s[sgprSrdD:sgprSrdD+3], 0, offen, offset:320,  sc0 sc1 // store D
v_cvt_f16_f32 v[vgprValuC+98], v[vgprValuC+98]     // convert C to fp16
_buffer_store_b16 v98, v6, s[sgprSrdD:sgprSrdD+3], 0, offen, offset:384,  sc0 sc1 // store D
v_cvt_f16_f32 v[vgprValuC+99], v[vgprValuC+99]     // convert C to fp16
s_lshl_b32  s54, s[sgprStrideD1J], 1               // incToNextRow: Scale by BPE
s_add_u32  s[sgprSrdD+0], s[sgprSrdD+0], s54       // incToNextRow: gra SRD += inc(lower)
s_addc_u32  s[sgprSrdD+1], s[sgprSrdD+1], 0        // incToNextRow: gra SRD += inc(upper)
_buffer_store_b16 v99, v6, s[sgprSrdD:sgprSrdD+3], 0, offen, offset:0,  sc0 sc1 // store D
v_cvt_f16_f32 v[vgprValuC+100], v[vgprValuC+100]   // convert C to fp16
_buffer_store_b16 v100, v6, s[sgprSrdD:sgprSrdD+3], 0, offen, offset:64,  sc0 sc1 // store D
v_cvt_f16_f32 v[vgprValuC+101], v[vgprValuC+101]   // convert C to fp16
_buffer_store_b16 v101, v6, s[sgprSrdD:sgprSrdD+3], 0, offen, offset:128,  sc0 sc1 // store D
v_cvt_f16_f32 v[vgprValuC+102], v[vgprValuC+102]   // convert C to fp16
_buffer_store_b16 v102, v6, s[sgprSrdD:sgprSrdD+3], 0, offen, offset:192,  sc0 sc1 // store D
v_cvt_f16_f32 v[vgprValuC+103], v[vgprValuC+103]   // convert C to fp16
_buffer_store_b16 v103, v6, s[sgprSrdD:sgprSrdD+3], 0, offen, offset:256,  sc0 sc1 // store D
v_cvt_f16_f32 v[vgprValuC+104], v[vgprValuC+104]   // convert C to fp16
_buffer_store_b16 v104, v6, s[sgprSrdD:sgprSrdD+3], 0, offen, offset:320,  sc0 sc1 // store D
v_cvt_f16_f32 v[vgprValuC+105], v[vgprValuC+105]   // convert C to fp16
_buffer_store_b16 v105, v6, s[sgprSrdD:sgprSrdD+3], 0, offen, offset:384,  sc0 sc1 // store D
v_cvt_f16_f32 v[vgprValuC+106], v[vgprValuC+106]   // convert C to fp16
s_lshl_b32  s54, s[sgprStrideD1J], 1               // incToNextRow: Scale by BPE
s_add_u32  s[sgprSrdD+0], s[sgprSrdD+0], s54       // incToNextRow: gra SRD += inc(lower)
s_addc_u32  s[sgprSrdD+1], s[sgprSrdD+1], 0        // incToNextRow: gra SRD += inc(upper)
_buffer_store_b16 v106, v6, s[sgprSrdD:sgprSrdD+3], 0, offen, offset:0,  sc0 sc1 // store D
v_cvt_f16_f32 v[vgprValuC+107], v[vgprValuC+107]   // convert C to fp16
_buffer_store_b16 v107, v6, s[sgprSrdD:sgprSrdD+3], 0, offen, offset:64,  sc0 sc1 // store D
v_cvt_f16_f32 v[vgprValuC+108], v[vgprValuC+108]   // convert C to fp16
_buffer_store_b16 v108, v6, s[sgprSrdD:sgprSrdD+3], 0, offen, offset:128,  sc0 sc1 // store D
v_cvt_f16_f32 v[vgprValuC+109], v[vgprValuC+109]   // convert C to fp16
_buffer_store_b16 v109, v6, s[sgprSrdD:sgprSrdD+3], 0, offen, offset:192,  sc0 sc1 // store D
v_cvt_f16_f32 v[vgprValuC+110], v[vgprValuC+110]   // convert C to fp16
_buffer_store_b16 v110, v6, s[sgprSrdD:sgprSrdD+3], 0, offen, offset:256,  sc0 sc1 // store D
v_cvt_f16_f32 v[vgprValuC+111], v[vgprValuC+111]   // convert C to fp16
_buffer_store_b16 v111, v6, s[sgprSrdD:sgprSrdD+3], 0, offen, offset:320,  sc0 sc1 // store D
v_cvt_f16_f32 v[vgprValuC+112], v[vgprValuC+112]   // convert C to fp16
_buffer_store_b16 v112, v6, s[sgprSrdD:sgprSrdD+3], 0, offen, offset:384,  sc0 sc1 // store D
v_cvt_f16_f32 v[vgprValuC+113], v[vgprValuC+113]   // convert C to fp16
	;; [unrolled: 17-line block ×3, first 2 shown]
s_mul_i32 s54, s[sgprStrideD1J], 58                // scale StrideD *= numRows(29) * bpe
s_add_u32  s[sgprSrdD+0], s[sgprSrdD+0], s54       // incToNextRow: gra SRD += inc(lower)
s_addc_u32  s[sgprSrdD+1], s[sgprSrdD+1], 0        // incToNextRow: gra SRD += inc(upper)
_buffer_store_b16 v120, v6, s[sgprSrdD:sgprSrdD+3], 0, offen, offset:0,  sc0 sc1 // store D
v_cvt_f16_f32 v[vgprValuC+121], v[vgprValuC+121]   // convert C to fp16
_buffer_store_b16 v121, v6, s[sgprSrdD:sgprSrdD+3], 0, offen, offset:64,  sc0 sc1 // store D
v_cvt_f16_f32 v[vgprValuC+122], v[vgprValuC+122]   // convert C to fp16
_buffer_store_b16 v122, v6, s[sgprSrdD:sgprSrdD+3], 0, offen, offset:128,  sc0 sc1 // store D
v_cvt_f16_f32 v[vgprValuC+123], v[vgprValuC+123]   // convert C to fp16
_buffer_store_b16 v123, v6, s[sgprSrdD:sgprSrdD+3], 0, offen, offset:192,  sc0 sc1 // store D
v_cvt_f16_f32 v[vgprValuC+124], v[vgprValuC+124]   // convert C to fp16
_buffer_store_b16 v124, v6, s[sgprSrdD:sgprSrdD+3], 0, offen, offset:256,  sc0 sc1 // store D
v_cvt_f16_f32 v[vgprValuC+125], v[vgprValuC+125]   // convert C to fp16
_buffer_store_b16 v125, v6, s[sgprSrdD:sgprSrdD+3], 0, offen, offset:320,  sc0 sc1 // store D
v_cvt_f16_f32 v[vgprValuC+126], v[vgprValuC+126]   // convert C to fp16
_buffer_store_b16 v126, v6, s[sgprSrdD:sgprSrdD+3], 0, offen, offset:384,  sc0 sc1 // store D
v_cvt_f16_f32 v[vgprValuC+127], v[vgprValuC+127]   // convert C to fp16
s_lshl_b32  s54, s[sgprStrideD1J], 1               // incToNextRow: Scale by BPE
s_add_u32  s[sgprSrdD+0], s[sgprSrdD+0], s54       // incToNextRow: gra SRD += inc(lower)
s_addc_u32  s[sgprSrdD+1], s[sgprSrdD+1], 0        // incToNextRow: gra SRD += inc(upper)
_buffer_store_b16 v127, v6, s[sgprSrdD:sgprSrdD+3], 0, offen, offset:0,  sc0 sc1 // store D
v_cvt_f16_f32 v[vgprValuC+128], v[vgprValuC+128]   // convert C to fp16
_buffer_store_b16 v128, v6, s[sgprSrdD:sgprSrdD+3], 0, offen, offset:64,  sc0 sc1 // store D
v_cvt_f16_f32 v[vgprValuC+129], v[vgprValuC+129]   // convert C to fp16
_buffer_store_b16 v129, v6, s[sgprSrdD:sgprSrdD+3], 0, offen, offset:128,  sc0 sc1 // store D
v_cvt_f16_f32 v[vgprValuC+130], v[vgprValuC+130]   // convert C to fp16
_buffer_store_b16 v130, v6, s[sgprSrdD:sgprSrdD+3], 0, offen, offset:192,  sc0 sc1 // store D
v_cvt_f16_f32 v[vgprValuC+131], v[vgprValuC+131]   // convert C to fp16
_buffer_store_b16 v131, v6, s[sgprSrdD:sgprSrdD+3], 0, offen, offset:256,  sc0 sc1 // store D
v_cvt_f16_f32 v[vgprValuC+132], v[vgprValuC+132]   // convert C to fp16
_buffer_store_b16 v132, v6, s[sgprSrdD:sgprSrdD+3], 0, offen, offset:320,  sc0 sc1 // store D
v_cvt_f16_f32 v[vgprValuC+133], v[vgprValuC+133]   // convert C to fp16
_buffer_store_b16 v133, v6, s[sgprSrdD:sgprSrdD+3], 0, offen, offset:384,  sc0 sc1 // store D
v_cvt_f16_f32 v[vgprValuC+134], v[vgprValuC+134]   // convert C to fp16
s_lshl_b32  s54, s[sgprStrideD1J], 1               // incToNextRow: Scale by BPE
s_add_u32  s[sgprSrdD+0], s[sgprSrdD+0], s54       // incToNextRow: gra SRD += inc(lower)
s_addc_u32  s[sgprSrdD+1], s[sgprSrdD+1], 0        // incToNextRow: gra SRD += inc(upper)
_buffer_store_b16 v134, v6, s[sgprSrdD:sgprSrdD+3], 0, offen, offset:0,  sc0 sc1 // store D
v_cvt_f16_f32 v[vgprValuC+135], v[vgprValuC+135]   // convert C to fp16
_buffer_store_b16 v135, v6, s[sgprSrdD:sgprSrdD+3], 0, offen, offset:64,  sc0 sc1 // store D
v_cvt_f16_f32 v[vgprValuC+136], v[vgprValuC+136]   // convert C to fp16
_buffer_store_b16 v136, v6, s[sgprSrdD:sgprSrdD+3], 0, offen, offset:128,  sc0 sc1 // store D
v_cvt_f16_f32 v[vgprValuC+137], v[vgprValuC+137]   // convert C to fp16
_buffer_store_b16 v137, v6, s[sgprSrdD:sgprSrdD+3], 0, offen, offset:192,  sc0 sc1 // store D
v_cvt_f16_f32 v[vgprValuC+138], v[vgprValuC+138]   // convert C to fp16
_buffer_store_b16 v138, v6, s[sgprSrdD:sgprSrdD+3], 0, offen, offset:256,  sc0 sc1 // store D
v_cvt_f16_f32 v[vgprValuC+139], v[vgprValuC+139]   // convert C to fp16
_buffer_store_b16 v139, v6, s[sgprSrdD:sgprSrdD+3], 0, offen, offset:320,  sc0 sc1 // store D
v_cvt_f16_f32 v[vgprValuC+140], v[vgprValuC+140]   // convert C to fp16
_buffer_store_b16 v140, v6, s[sgprSrdD:sgprSrdD+3], 0, offen, offset:384,  sc0 sc1 // store D
v_cvt_f16_f32 v[vgprValuC+141], v[vgprValuC+141]   // convert C to fp16
s_lshl_b32  s54, s[sgprStrideD1J], 1               // incToNextRow: Scale by BPE
s_add_u32  s[sgprSrdD+0], s[sgprSrdD+0], s54       // incToNextRow: gra SRD += inc(lower)
s_addc_u32  s[sgprSrdD+1], s[sgprSrdD+1], 0        // incToNextRow: gra SRD += inc(upper)
_buffer_store_b16 v141, v6, s[sgprSrdD:sgprSrdD+3], 0, offen, offset:0,  sc0 sc1 // store D
v_cvt_f16_f32 v[vgprValuC+142], v[vgprValuC+142]   // convert C to fp16
_buffer_store_b16 v142, v6, s[sgprSrdD:sgprSrdD+3], 0, offen, offset:64,  sc0 sc1 // store D
v_cvt_f16_f32 v[vgprValuC+143], v[vgprValuC+143]   // convert C to fp16
	;; [unrolled: 2-line block ×7, first 2 shown]
s_mul_i32 s54, s[sgprStrideD1J], 58                // scale StrideD *= numRows(29) * bpe
s_add_u32  s[sgprSrdD+0], s[sgprSrdD+0], s54       // incToNextRow: gra SRD += inc(lower)
s_addc_u32  s[sgprSrdD+1], s[sgprSrdD+1], 0        // incToNextRow: gra SRD += inc(upper)
_buffer_store_b16 v148, v6, s[sgprSrdD:sgprSrdD+3], 0, offen, offset:0,  sc0 sc1 // store D
v_cvt_f16_f32 v[vgprValuC+149], v[vgprValuC+149]   // convert C to fp16
_buffer_store_b16 v149, v6, s[sgprSrdD:sgprSrdD+3], 0, offen, offset:64,  sc0 sc1 // store D
v_cvt_f16_f32 v[vgprValuC+150], v[vgprValuC+150]   // convert C to fp16
_buffer_store_b16 v150, v6, s[sgprSrdD:sgprSrdD+3], 0, offen, offset:128,  sc0 sc1 // store D
v_cvt_f16_f32 v[vgprValuC+151], v[vgprValuC+151]   // convert C to fp16
_buffer_store_b16 v151, v6, s[sgprSrdD:sgprSrdD+3], 0, offen, offset:192,  sc0 sc1 // store D
v_cvt_f16_f32 v[vgprValuC+152], v[vgprValuC+152]   // convert C to fp16
_buffer_store_b16 v152, v6, s[sgprSrdD:sgprSrdD+3], 0, offen, offset:256,  sc0 sc1 // store D
v_cvt_f16_f32 v[vgprValuC+153], v[vgprValuC+153]   // convert C to fp16
_buffer_store_b16 v153, v6, s[sgprSrdD:sgprSrdD+3], 0, offen, offset:320,  sc0 sc1 // store D
v_cvt_f16_f32 v[vgprValuC+154], v[vgprValuC+154]   // convert C to fp16
_buffer_store_b16 v154, v6, s[sgprSrdD:sgprSrdD+3], 0, offen, offset:384,  sc0 sc1 // store D
v_cvt_f16_f32 v[vgprValuC+155], v[vgprValuC+155]   // convert C to fp16
s_lshl_b32  s54, s[sgprStrideD1J], 1               // incToNextRow: Scale by BPE
s_add_u32  s[sgprSrdD+0], s[sgprSrdD+0], s54       // incToNextRow: gra SRD += inc(lower)
s_addc_u32  s[sgprSrdD+1], s[sgprSrdD+1], 0        // incToNextRow: gra SRD += inc(upper)
_buffer_store_b16 v155, v6, s[sgprSrdD:sgprSrdD+3], 0, offen, offset:0,  sc0 sc1 // store D
v_cvt_f16_f32 v[vgprValuC+156], v[vgprValuC+156]   // convert C to fp16
_buffer_store_b16 v156, v6, s[sgprSrdD:sgprSrdD+3], 0, offen, offset:64,  sc0 sc1 // store D
v_cvt_f16_f32 v[vgprValuC+157], v[vgprValuC+157]   // convert C to fp16
_buffer_store_b16 v157, v6, s[sgprSrdD:sgprSrdD+3], 0, offen, offset:128,  sc0 sc1 // store D
v_cvt_f16_f32 v[vgprValuC+158], v[vgprValuC+158]   // convert C to fp16
_buffer_store_b16 v158, v6, s[sgprSrdD:sgprSrdD+3], 0, offen, offset:192,  sc0 sc1 // store D
v_cvt_f16_f32 v[vgprValuC+159], v[vgprValuC+159]   // convert C to fp16
_buffer_store_b16 v159, v6, s[sgprSrdD:sgprSrdD+3], 0, offen, offset:256,  sc0 sc1 // store D
v_cvt_f16_f32 v[vgprValuC+160], v[vgprValuC+160]   // convert C to fp16
_buffer_store_b16 v160, v6, s[sgprSrdD:sgprSrdD+3], 0, offen, offset:320,  sc0 sc1 // store D
v_cvt_f16_f32 v[vgprValuC+161], v[vgprValuC+161]   // convert C to fp16
_buffer_store_b16 v161, v6, s[sgprSrdD:sgprSrdD+3], 0, offen, offset:384,  sc0 sc1 // store D
v_cvt_f16_f32 v[vgprValuC+162], v[vgprValuC+162]   // convert C to fp16
s_lshl_b32  s54, s[sgprStrideD1J], 1               // incToNextRow: Scale by BPE
	;; [unrolled: 17-line block ×3, first 2 shown]
s_add_u32  s[sgprSrdD+0], s[sgprSrdD+0], s54       // incToNextRow: gra SRD += inc(lower)
s_addc_u32  s[sgprSrdD+1], s[sgprSrdD+1], 0        // incToNextRow: gra SRD += inc(upper)
_buffer_store_b16 v169, v6, s[sgprSrdD:sgprSrdD+3], 0, offen, offset:0,  sc0 sc1 // store D
v_cvt_f16_f32 v[vgprValuC+170], v[vgprValuC+170]   // convert C to fp16
_buffer_store_b16 v170, v6, s[sgprSrdD:sgprSrdD+3], 0, offen, offset:64,  sc0 sc1 // store D
v_cvt_f16_f32 v[vgprValuC+171], v[vgprValuC+171]   // convert C to fp16
	;; [unrolled: 2-line block ×7, first 2 shown]
s_mul_i32 s54, s[sgprStrideD1J], 58                // scale StrideD *= numRows(29) * bpe
s_add_u32  s[sgprSrdD+0], s[sgprSrdD+0], s54       // incToNextRow: gra SRD += inc(lower)
s_addc_u32  s[sgprSrdD+1], s[sgprSrdD+1], 0        // incToNextRow: gra SRD += inc(upper)
_buffer_store_b16 v176, v6, s[sgprSrdD:sgprSrdD+3], 0, offen, offset:0,  sc0 sc1 // store D
v_cvt_f16_f32 v[vgprValuC+177], v[vgprValuC+177]   // convert C to fp16
_buffer_store_b16 v177, v6, s[sgprSrdD:sgprSrdD+3], 0, offen, offset:64,  sc0 sc1 // store D
v_cvt_f16_f32 v[vgprValuC+178], v[vgprValuC+178]   // convert C to fp16
_buffer_store_b16 v178, v6, s[sgprSrdD:sgprSrdD+3], 0, offen, offset:128,  sc0 sc1 // store D
v_cvt_f16_f32 v[vgprValuC+179], v[vgprValuC+179]   // convert C to fp16
_buffer_store_b16 v179, v6, s[sgprSrdD:sgprSrdD+3], 0, offen, offset:192,  sc0 sc1 // store D
v_cvt_f16_f32 v[vgprValuC+180], v[vgprValuC+180]   // convert C to fp16
_buffer_store_b16 v180, v6, s[sgprSrdD:sgprSrdD+3], 0, offen, offset:256,  sc0 sc1 // store D
v_cvt_f16_f32 v[vgprValuC+181], v[vgprValuC+181]   // convert C to fp16
_buffer_store_b16 v181, v6, s[sgprSrdD:sgprSrdD+3], 0, offen, offset:320,  sc0 sc1 // store D
v_cvt_f16_f32 v[vgprValuC+182], v[vgprValuC+182]   // convert C to fp16
_buffer_store_b16 v182, v6, s[sgprSrdD:sgprSrdD+3], 0, offen, offset:384,  sc0 sc1 // store D
v_cvt_f16_f32 v[vgprValuC+183], v[vgprValuC+183]   // convert C to fp16
s_lshl_b32  s54, s[sgprStrideD1J], 1               // incToNextRow: Scale by BPE
s_add_u32  s[sgprSrdD+0], s[sgprSrdD+0], s54       // incToNextRow: gra SRD += inc(lower)
s_addc_u32  s[sgprSrdD+1], s[sgprSrdD+1], 0        // incToNextRow: gra SRD += inc(upper)
_buffer_store_b16 v183, v6, s[sgprSrdD:sgprSrdD+3], 0, offen, offset:0,  sc0 sc1 // store D
v_cvt_f16_f32 v[vgprValuC+184], v[vgprValuC+184]   // convert C to fp16
_buffer_store_b16 v184, v6, s[sgprSrdD:sgprSrdD+3], 0, offen, offset:64,  sc0 sc1 // store D
v_cvt_f16_f32 v[vgprValuC+185], v[vgprValuC+185]   // convert C to fp16
_buffer_store_b16 v185, v6, s[sgprSrdD:sgprSrdD+3], 0, offen, offset:128,  sc0 sc1 // store D
v_cvt_f16_f32 v[vgprValuC+186], v[vgprValuC+186]   // convert C to fp16
_buffer_store_b16 v186, v6, s[sgprSrdD:sgprSrdD+3], 0, offen, offset:192,  sc0 sc1 // store D
v_cvt_f16_f32 v[vgprValuC+187], v[vgprValuC+187]   // convert C to fp16
_buffer_store_b16 v187, v6, s[sgprSrdD:sgprSrdD+3], 0, offen, offset:256,  sc0 sc1 // store D
v_cvt_f16_f32 v[vgprValuC+188], v[vgprValuC+188]   // convert C to fp16
_buffer_store_b16 v188, v6, s[sgprSrdD:sgprSrdD+3], 0, offen, offset:320,  sc0 sc1 // store D
v_cvt_f16_f32 v[vgprValuC+189], v[vgprValuC+189]   // convert C to fp16
_buffer_store_b16 v189, v6, s[sgprSrdD:sgprSrdD+3], 0, offen, offset:384,  sc0 sc1 // store D
v_cvt_f16_f32 v[vgprValuC+190], v[vgprValuC+190]   // convert C to fp16
s_lshl_b32  s54, s[sgprStrideD1J], 1               // incToNextRow: Scale by BPE
	;; [unrolled: 17-line block ×3, first 2 shown]
s_add_u32  s[sgprSrdD+0], s[sgprSrdD+0], s54       // incToNextRow: gra SRD += inc(lower)
s_addc_u32  s[sgprSrdD+1], s[sgprSrdD+1], 0        // incToNextRow: gra SRD += inc(upper)
_buffer_store_b16 v197, v6, s[sgprSrdD:sgprSrdD+3], 0, offen, offset:0,  sc0 sc1 // store D
v_cvt_f16_f32 v[vgprValuC+198], v[vgprValuC+198]   // convert C to fp16
_buffer_store_b16 v198, v6, s[sgprSrdD:sgprSrdD+3], 0, offen, offset:64,  sc0 sc1 // store D
v_cvt_f16_f32 v[vgprValuC+199], v[vgprValuC+199]   // convert C to fp16
	;; [unrolled: 2-line block ×7, first 2 shown]
s_mul_i32 s54, s[sgprStrideD1J], 58                // scale StrideD *= numRows(29) * bpe
s_add_u32  s[sgprSrdD+0], s[sgprSrdD+0], s54       // incToNextRow: gra SRD += inc(lower)
s_addc_u32  s[sgprSrdD+1], s[sgprSrdD+1], 0        // incToNextRow: gra SRD += inc(upper)
_buffer_store_b16 v204, v6, s[sgprSrdD:sgprSrdD+3], 0, offen, offset:0,  sc0 sc1 // store D
v_cvt_f16_f32 v[vgprValuC+205], v[vgprValuC+205]   // convert C to fp16
_buffer_store_b16 v205, v6, s[sgprSrdD:sgprSrdD+3], 0, offen, offset:64,  sc0 sc1 // store D
v_cvt_f16_f32 v[vgprValuC+206], v[vgprValuC+206]   // convert C to fp16
_buffer_store_b16 v206, v6, s[sgprSrdD:sgprSrdD+3], 0, offen, offset:128,  sc0 sc1 // store D
v_cvt_f16_f32 v[vgprValuC+207], v[vgprValuC+207]   // convert C to fp16
_buffer_store_b16 v207, v6, s[sgprSrdD:sgprSrdD+3], 0, offen, offset:192,  sc0 sc1 // store D
v_cvt_f16_f32 v[vgprValuC+208], v[vgprValuC+208]   // convert C to fp16
_buffer_store_b16 v208, v6, s[sgprSrdD:sgprSrdD+3], 0, offen, offset:256,  sc0 sc1 // store D
v_cvt_f16_f32 v[vgprValuC+209], v[vgprValuC+209]   // convert C to fp16
_buffer_store_b16 v209, v6, s[sgprSrdD:sgprSrdD+3], 0, offen, offset:320,  sc0 sc1 // store D
v_cvt_f16_f32 v[vgprValuC+210], v[vgprValuC+210]   // convert C to fp16
_buffer_store_b16 v210, v6, s[sgprSrdD:sgprSrdD+3], 0, offen, offset:384,  sc0 sc1 // store D
v_cvt_f16_f32 v[vgprValuC+211], v[vgprValuC+211]   // convert C to fp16
s_lshl_b32  s54, s[sgprStrideD1J], 1               // incToNextRow: Scale by BPE
s_add_u32  s[sgprSrdD+0], s[sgprSrdD+0], s54       // incToNextRow: gra SRD += inc(lower)
s_addc_u32  s[sgprSrdD+1], s[sgprSrdD+1], 0        // incToNextRow: gra SRD += inc(upper)
_buffer_store_b16 v211, v6, s[sgprSrdD:sgprSrdD+3], 0, offen, offset:0,  sc0 sc1 // store D
v_cvt_f16_f32 v[vgprValuC+212], v[vgprValuC+212]   // convert C to fp16
_buffer_store_b16 v212, v6, s[sgprSrdD:sgprSrdD+3], 0, offen, offset:64,  sc0 sc1 // store D
v_cvt_f16_f32 v[vgprValuC+213], v[vgprValuC+213]   // convert C to fp16
_buffer_store_b16 v213, v6, s[sgprSrdD:sgprSrdD+3], 0, offen, offset:128,  sc0 sc1 // store D
v_cvt_f16_f32 v[vgprValuC+214], v[vgprValuC+214]   // convert C to fp16
_buffer_store_b16 v214, v6, s[sgprSrdD:sgprSrdD+3], 0, offen, offset:192,  sc0 sc1 // store D
v_cvt_f16_f32 v[vgprValuC+215], v[vgprValuC+215]   // convert C to fp16
_buffer_store_b16 v215, v6, s[sgprSrdD:sgprSrdD+3], 0, offen, offset:256,  sc0 sc1 // store D
v_cvt_f16_f32 v[vgprValuC+216], v[vgprValuC+216]   // convert C to fp16
_buffer_store_b16 v216, v6, s[sgprSrdD:sgprSrdD+3], 0, offen, offset:320,  sc0 sc1 // store D
v_cvt_f16_f32 v[vgprValuC+217], v[vgprValuC+217]   // convert C to fp16
_buffer_store_b16 v217, v6, s[sgprSrdD:sgprSrdD+3], 0, offen, offset:384,  sc0 sc1 // store D
v_cvt_f16_f32 v[vgprValuC+218], v[vgprValuC+218]   // convert C to fp16
s_lshl_b32  s54, s[sgprStrideD1J], 1               // incToNextRow: Scale by BPE
	;; [unrolled: 17-line block ×3, first 2 shown]
s_add_u32  s[sgprSrdD+0], s[sgprSrdD+0], s54       // incToNextRow: gra SRD += inc(lower)
s_addc_u32  s[sgprSrdD+1], s[sgprSrdD+1], 0        // incToNextRow: gra SRD += inc(upper)
_buffer_store_b16 v225, v6, s[sgprSrdD:sgprSrdD+3], 0, offen, offset:0,  sc0 sc1 // store D
v_cvt_f16_f32 v[vgprValuC+226], v[vgprValuC+226]   // convert C to fp16
_buffer_store_b16 v226, v6, s[sgprSrdD:sgprSrdD+3], 0, offen, offset:64,  sc0 sc1 // store D
v_cvt_f16_f32 v[vgprValuC+227], v[vgprValuC+227]   // convert C to fp16
	;; [unrolled: 2-line block ×6, first 2 shown]
_buffer_store_b16 v231, v6, s[sgprSrdD:sgprSrdD+3], 0, offen, offset:384,  sc0 sc1 // store D
s_nop 0                                            // 1 wait state required when next inst writes vgprs held by previous dwordx4 store inst
s_branch label_GW_End_23                           // jump to end
label_GW_End_23:

s_endpgm                                           // Kernel End
OptNLL_End_17:


/******************************************/
/* Ord. NoLoadLoop - Begin                                      */
/******************************************/


	;; [unrolled: 1-line block ×4, first 2 shown]
/* iter 0 (last unrolled loop) */

/*  grEndMfmaIndex:0, lwStartMfmaIndex:198, lwEndMfmaIndex:198  */
/*  numMfmaForLR:20, barrierMfmaIndex:203, LocalWritePerMfma:0.405 */
/*  mfmaIndex:0  */
s_waitcnt lgkmcnt(0)                               // lgkmcnt=0 vmcnt=-1wait for prior local read local write old=0, new=0 newLW=0 newLR=0
v_mfma_f32_16x16x16_f16 a[0+0:3+0], v[vgprValuB_X0_I0+0+0+0:vgprValuB_X0_I0+0+0+0+1], v[vgprValuA_X0_I0+0+0+0:vgprValuA_X0_I0+0+0+0+1], a[0:3]
/*  mfmaIndex:1  */
_ds_load_b64 v[vgprValuA_X1_I0+0:vgprValuA_X1_I0+0+1], v[vgprLocalReadAddrA] offset:32 // L -> Reg lro=16 swapByteOffset=0 ti=32 vIdx=0 rIdx=0 oIdx=0 buffer=1 iui=0
v_mfma_f32_16x16x16_f16 a[4+0:7+0], v[vgprValuB_X0_I0+0+0+0:vgprValuB_X0_I0+0+0+0+1], v[vgprValuA_X0_I0+2+0+0:vgprValuA_X0_I0+2+0+0+1], a[4:7]
/*  mfmaIndex:2  */
_ds_load_b64 v[vgprValuB_X1_I0+0:vgprValuB_X1_I0+0+1], v[vgprLocalReadAddrB] offset:32 // L -> Reg lro=16 swapByteOffset=0 ti=32 vIdx=0 rIdx=0 oIdx=0 buffer=1 iui=0
v_mfma_f32_16x16x16_f16 a[8+0:11+0], v[vgprValuB_X0_I0+0+0+0:vgprValuB_X0_I0+0+0+0+1], v[vgprValuA_X0_I0+4+0+0:vgprValuA_X0_I0+4+0+0+1], a[8:11]
/*  mfmaIndex:3  */
_ds_load_b64 v[vgprValuA_X1_I0+2:vgprValuA_X1_I0+2+1], v[vgprLocalReadAddrA] offset:4384 // L -> Reg lro=16 swapByteOffset=0 ti=32 vIdx=1 rIdx=0 oIdx=0 buffer=1 iui=0
v_mfma_f32_16x16x16_f16 a[12+0:15+0], v[vgprValuB_X0_I0+0+0+0:vgprValuB_X0_I0+0+0+0+1], v[vgprValuA_X0_I0+6+0+0:vgprValuA_X0_I0+6+0+0+1], a[12:15]
/*  mfmaIndex:4  */
_ds_load_b64 v[vgprValuA_X1_I0+4:vgprValuA_X1_I0+4+1], v[vgprLocalReadAddrA] offset:8736 // L -> Reg lro=16 swapByteOffset=0 ti=32 vIdx=2 rIdx=0 oIdx=0 buffer=1 iui=0
v_mfma_f32_16x16x16_f16 a[16+0:19+0], v[vgprValuB_X0_I0+0+0+0:vgprValuB_X0_I0+0+0+0+1], v[vgprValuA_X0_I0+8+0+0:vgprValuA_X0_I0+8+0+0+1], a[16:19]
/*  mfmaIndex:5  */
_ds_load_b64 v[vgprValuA_X1_I0+6:vgprValuA_X1_I0+6+1], v[vgprLocalReadAddrA] offset:13088 // L -> Reg lro=16 swapByteOffset=0 ti=32 vIdx=3 rIdx=0 oIdx=0 buffer=1 iui=0
v_mfma_f32_16x16x16_f16 a[20+0:23+0], v[vgprValuB_X0_I0+0+0+0:vgprValuB_X0_I0+0+0+0+1], v[vgprValuA_X0_I0+10+0+0:vgprValuA_X0_I0+10+0+0+1], a[20:23]
/*  mfmaIndex:6  */
_ds_load_b64 v[vgprValuA_X1_I0+8:vgprValuA_X1_I0+8+1], v[vgprLocalReadAddrA] offset:17440 // L -> Reg lro=16 swapByteOffset=0 ti=32 vIdx=4 rIdx=0 oIdx=0 buffer=1 iui=0
v_mfma_f32_16x16x16_f16 a[24+0:27+0], v[vgprValuB_X0_I0+0+0+0:vgprValuB_X0_I0+0+0+0+1], v[vgprValuA_X0_I0+12+0+0:vgprValuA_X0_I0+12+0+0+1], a[24:27]
/*  mfmaIndex:7  */
_ds_load_b64 v[vgprValuA_X1_I0+10:vgprValuA_X1_I0+10+1], v[vgprLocalReadAddrA] offset:21792 // L -> Reg lro=16 swapByteOffset=0 ti=32 vIdx=5 rIdx=0 oIdx=0 buffer=1 iui=0
v_mfma_f32_16x16x16_f16 a[52+0:55+0], v[vgprValuB_X0_I0+2+0+0:vgprValuB_X0_I0+2+0+0+1], v[vgprValuA_X0_I0+12+0+0:vgprValuA_X0_I0+12+0+0+1], a[52:55]
/*  mfmaIndex:8  */
_ds_load_b64 v[vgprValuA_X1_I0+12:vgprValuA_X1_I0+12+1], v[vgprLocalReadAddrA] offset:26144 // L -> Reg lro=16 swapByteOffset=0 ti=32 vIdx=6 rIdx=0 oIdx=0 buffer=1 iui=0
v_mfma_f32_16x16x16_f16 a[48+0:51+0], v[vgprValuB_X0_I0+2+0+0:vgprValuB_X0_I0+2+0+0+1], v[vgprValuA_X0_I0+10+0+0:vgprValuA_X0_I0+10+0+0+1], a[48:51]
/*  mfmaIndex:9  */
_ds_load_b64 v[vgprValuB_X1_I0+2:vgprValuB_X1_I0+2+1], v[vgprLocalReadAddrB] offset:4384 // L -> Reg lro=16 swapByteOffset=0 ti=32 vIdx=1 rIdx=0 oIdx=0 buffer=1 iui=0
v_mfma_f32_16x16x16_f16 a[44+0:47+0], v[vgprValuB_X0_I0+2+0+0:vgprValuB_X0_I0+2+0+0+1], v[vgprValuA_X0_I0+8+0+0:vgprValuA_X0_I0+8+0+0+1], a[44:47]
/*  mfmaIndex:10  */
_ds_load_b64 v[vgprValuB_X1_I0+4:vgprValuB_X1_I0+4+1], v[vgprLocalReadAddrB] offset:8736 // L -> Reg lro=16 swapByteOffset=0 ti=32 vIdx=2 rIdx=0 oIdx=0 buffer=1 iui=0
	;; [unrolled: 3-line block ×7, first 2 shown]
v_mfma_f32_16x16x16_f16 a[60+0:63+0], v[vgprValuB_X0_I0+4+0+0:vgprValuB_X0_I0+4+0+0+1], v[vgprValuA_X0_I0+2+0+0:vgprValuA_X0_I0+2+0+0+1], a[60:63]
/*  mfmaIndex:16  */
/* localReadsVacancy: latencyLeft 2 */
_ds_load_b64 v[vgprValuA_X2_I0+0:vgprValuA_X2_I0+0+1], v[vgprLocalReadAddrA] offset:64 // L -> Reg lro=32 swapByteOffset=0 ti=32 vIdx=0 rIdx=0 oIdx=0 buffer=2 iui=0
v_mfma_f32_16x16x16_f16 a[64+0:67+0], v[vgprValuB_X0_I0+4+0+0:vgprValuB_X0_I0+4+0+0+1], v[vgprValuA_X0_I0+4+0+0:vgprValuA_X0_I0+4+0+0+1], a[64:67]
/*  mfmaIndex:17  */
/* localReadsVacancy: latencyLeft 2 */
_ds_load_b64 v[vgprValuB_X2_I0+0:vgprValuB_X2_I0+0+1], v[vgprLocalReadAddrB] offset:64 // L -> Reg lro=32 swapByteOffset=0 ti=32 vIdx=0 rIdx=0 oIdx=0 buffer=2 iui=0
v_mfma_f32_16x16x16_f16 a[68+0:71+0], v[vgprValuB_X0_I0+4+0+0:vgprValuB_X0_I0+4+0+0+1], v[vgprValuA_X0_I0+6+0+0:vgprValuA_X0_I0+6+0+0+1], a[68:71]
/*  mfmaIndex:18  */
/* localReadsVacancy: latencyLeft 2 */
_ds_load_b64 v[vgprValuA_X2_I0+2:vgprValuA_X2_I0+2+1], v[vgprLocalReadAddrA] offset:4416 // L -> Reg lro=32 swapByteOffset=0 ti=32 vIdx=1 rIdx=0 oIdx=0 buffer=2 iui=0
v_mfma_f32_16x16x16_f16 a[72+0:75+0], v[vgprValuB_X0_I0+4+0+0:vgprValuB_X0_I0+4+0+0+1], v[vgprValuA_X0_I0+8+0+0:vgprValuA_X0_I0+8+0+0+1], a[72:75]
/*  mfmaIndex:19  */
/* localReadsVacancy: latencyLeft 2 */
_ds_load_b64 v[vgprValuA_X2_I0+4:vgprValuA_X2_I0+4+1], v[vgprLocalReadAddrA] offset:8768 // L -> Reg lro=32 swapByteOffset=0 ti=32 vIdx=2 rIdx=0 oIdx=0 buffer=2 iui=0
	;; [unrolled: 4-line block ×6, first 2 shown]
v_mfma_f32_16x16x16_f16 a[100+0:103+0], v[vgprValuB_X0_I0+6+0+0:vgprValuB_X0_I0+6+0+0+1], v[vgprValuA_X0_I0+8+0+0:vgprValuA_X0_I0+8+0+0+1], a[100:103]
/*  mfmaIndex:24  */
/* localReadsVacancy: latencyLeft 2 */
_ds_load_b64 v[vgprValuB_X2_I0+2:vgprValuB_X2_I0+2+1], v[vgprLocalReadAddrB] offset:4416 // L -> Reg lro=32 swapByteOffset=0 ti=32 vIdx=1 rIdx=0 oIdx=0 buffer=2 iui=0
v_mfma_f32_16x16x16_f16 a[96+0:99+0], v[vgprValuB_X0_I0+6+0+0:vgprValuB_X0_I0+6+0+0+1], v[vgprValuA_X0_I0+6+0+0:vgprValuA_X0_I0+6+0+0+1], a[96:99]
/*  mfmaIndex:25  */
/* localReadsVacancy: latencyLeft 2 */
_ds_load_b64 v[vgprValuB_X2_I0+4:vgprValuB_X2_I0+4+1], v[vgprLocalReadAddrB] offset:8768 // L -> Reg lro=32 swapByteOffset=0 ti=32 vIdx=2 rIdx=0 oIdx=0 buffer=2 iui=0
	;; [unrolled: 4-line block ×7, first 2 shown]
v_mfma_f32_16x16x16_f16 a[120+0:123+0], v[vgprValuB_X0_I0+8+0+0:vgprValuB_X0_I0+8+0+0+1], v[vgprValuA_X0_I0+4+0+0:vgprValuA_X0_I0+4+0+0+1], a[120:123]
/*  mfmaIndex:31  */
/* localReadsVacancy: latencyLeft 2 */
_ds_load_b64 v[vgprValuA_X3_I0+0:vgprValuA_X3_I0+0+1], v[vgprLocalReadAddrA] offset:96 // L -> Reg lro=48 swapByteOffset=0 ti=32 vIdx=0 rIdx=0 oIdx=0 buffer=3 iui=0
v_mfma_f32_16x16x16_f16 a[124+0:127+0], v[vgprValuB_X0_I0+8+0+0:vgprValuB_X0_I0+8+0+0+1], v[vgprValuA_X0_I0+6+0+0:vgprValuA_X0_I0+6+0+0+1], a[124:127]
/*  mfmaIndex:32  */
/* localReadsVacancy: latencyLeft 2 */
_ds_load_b64 v[vgprValuB_X3_I0+0:vgprValuB_X3_I0+0+1], v[vgprLocalReadAddrB] offset:96 // L -> Reg lro=48 swapByteOffset=0 ti=32 vIdx=0 rIdx=0 oIdx=0 buffer=3 iui=0
v_mfma_f32_16x16x16_f16 a[128+0:131+0], v[vgprValuB_X0_I0+8+0+0:vgprValuB_X0_I0+8+0+0+1], v[vgprValuA_X0_I0+8+0+0:vgprValuA_X0_I0+8+0+0+1], a[128:131]
/*  mfmaIndex:33  */
/* localReadsVacancy: latencyLeft 2 */
_ds_load_b64 v[vgprValuA_X3_I0+2:vgprValuA_X3_I0+2+1], v[vgprLocalReadAddrA] offset:4448 // L -> Reg lro=48 swapByteOffset=0 ti=32 vIdx=1 rIdx=0 oIdx=0 buffer=3 iui=0
v_mfma_f32_16x16x16_f16 a[132+0:135+0], v[vgprValuB_X0_I0+8+0+0:vgprValuB_X0_I0+8+0+0+1], v[vgprValuA_X0_I0+10+0+0:vgprValuA_X0_I0+10+0+0+1], a[132:135]
/*  mfmaIndex:34  */
/* localReadsVacancy: latencyLeft 2 */
_ds_load_b64 v[vgprValuA_X3_I0+4:vgprValuA_X3_I0+4+1], v[vgprLocalReadAddrA] offset:8800 // L -> Reg lro=48 swapByteOffset=0 ti=32 vIdx=2 rIdx=0 oIdx=0 buffer=3 iui=0
	;; [unrolled: 4-line block ×6, first 2 shown]
v_mfma_f32_16x16x16_f16 a[152+0:155+0], v[vgprValuB_X0_I0+10+0+0:vgprValuB_X0_I0+10+0+0+1], v[vgprValuA_X0_I0+6+0+0:vgprValuA_X0_I0+6+0+0+1], a[152:155]
/*  mfmaIndex:39  */
/* localReadsVacancy: latencyLeft 2 */
_ds_load_b64 v[vgprValuB_X3_I0+2:vgprValuB_X3_I0+2+1], v[vgprLocalReadAddrB] offset:4448 // L -> Reg lro=48 swapByteOffset=0 ti=32 vIdx=1 rIdx=0 oIdx=0 buffer=3 iui=0
v_mfma_f32_16x16x16_f16 a[148+0:151+0], v[vgprValuB_X0_I0+10+0+0:vgprValuB_X0_I0+10+0+0+1], v[vgprValuA_X0_I0+4+0+0:vgprValuA_X0_I0+4+0+0+1], a[148:151]
/*  mfmaIndex:40  */
/* localReadsVacancy: latencyLeft 2 */
_ds_load_b64 v[vgprValuB_X3_I0+4:vgprValuB_X3_I0+4+1], v[vgprLocalReadAddrB] offset:8800 // L -> Reg lro=48 swapByteOffset=0 ti=32 vIdx=2 rIdx=0 oIdx=0 buffer=3 iui=0
	;; [unrolled: 4-line block ×7, first 2 shown]
v_mfma_f32_16x16x16_f16 a[180+0:183+0], v[vgprValuB_X0_I0+12+0+0:vgprValuB_X0_I0+12+0+0+1], v[vgprValuA_X0_I0+6+0+0:vgprValuA_X0_I0+6+0+0+1], a[180:183]
/*  mfmaIndex:46  */
/* localReadsVacancy: latencyLeft 2 */
v_mfma_f32_16x16x16_f16 a[184+0:187+0], v[vgprValuB_X0_I0+12+0+0:vgprValuB_X0_I0+12+0+0+1], v[vgprValuA_X0_I0+8+0+0:vgprValuA_X0_I0+8+0+0+1], a[184:187]
/*  mfmaIndex:47  */
/* localReadsVacancy: latencyLeft 2 */
	;; [unrolled: 3-line block ×10, first 2 shown]
v_mfma_f32_16x16x16_f16 a[196+0:199+0], v[vgprValuB_X0_I0+14+0+0:vgprValuB_X0_I0+14+0+0+1], v[vgprValuA_X0_I0+0+0+0:vgprValuA_X0_I0+0+0+0+1], a[196:199]
/* numPrefetchIter=0 */
/* dataAtIterA=-1 numReadsIterA=1 skipReadsIterA=1 readsPerIterA=7 */
/* dataAtIterB=-1 numReadsIterB=1 skipReadsIterB=1 readsPerIterB=8 */


/* iter 1 (last unrolled loop) */

/*  grEndMfmaIndex:0, lwStartMfmaIndex:198, lwEndMfmaIndex:198  */
/*  numMfmaForLR:20, barrierMfmaIndex:203, LocalWritePerMfma:0.405 */
/*  mfmaIndex:56  */
/* localReadsVacancy: latencyLeft 2 */
s_waitcnt lgkmcnt(15)                              // lgkmcnt=0 vmcnt=-1wait for prior local read local write old=15, new=15 newLW=0 newLR=0
v_mfma_f32_16x16x16_f16 a[0+0:3+0], v[vgprValuB_X1_I0+0+0+0:vgprValuB_X1_I0+0+0+0+1], v[vgprValuA_X1_I0+0+0+0:vgprValuA_X1_I0+0+0+0+1], a[0:3]
/*  mfmaIndex:57  */
/* localReadsVacancy: latencyLeft 2 */
v_mfma_f32_16x16x16_f16 a[4+0:7+0], v[vgprValuB_X1_I0+0+0+0:vgprValuB_X1_I0+0+0+0+1], v[vgprValuA_X1_I0+2+0+0:vgprValuA_X1_I0+2+0+0+1], a[4:7]
/*  mfmaIndex:58  */
/* localReadsVacancy: latencyLeft 2 */
	;; [unrolled: 3-line block ×55, first 2 shown]
v_mfma_f32_16x16x16_f16 a[196+0:199+0], v[vgprValuB_X1_I0+14+0+0:vgprValuB_X1_I0+14+0+0+1], v[vgprValuA_X1_I0+0+0+0:vgprValuA_X1_I0+0+0+0+1], a[196:199]
/* numPrefetchIter=0 */
/* dataAtIterA=0 numReadsIterA=2 skipReadsIterA=1 readsPerIterA=7 */
/* dataAtIterB=0 numReadsIterB=2 skipReadsIterB=1 readsPerIterB=8 */


/* iter 2 (last unrolled loop) */

/*  grEndMfmaIndex:0, lwStartMfmaIndex:198, lwEndMfmaIndex:198  */
/*  numMfmaForLR:20, barrierMfmaIndex:203, LocalWritePerMfma:0.405 */
/*  mfmaIndex:112  */
/* localReadsVacancy: latencyLeft 2 */
s_waitcnt lgkmcnt(0)                               // lgkmcnt=0 vmcnt=-1wait for prior local read local write old=0, new=0 newLW=0 newLR=0
v_mfma_f32_16x16x16_f16 a[0+0:3+0], v[vgprValuB_X2_I0+0+0+0:vgprValuB_X2_I0+0+0+0+1], v[vgprValuA_X2_I0+0+0+0:vgprValuA_X2_I0+0+0+0+1], a[0:3]
/*  mfmaIndex:113  */
/* localReadsVacancy: latencyLeft 2 */
v_mfma_f32_16x16x16_f16 a[4+0:7+0], v[vgprValuB_X2_I0+0+0+0:vgprValuB_X2_I0+0+0+0+1], v[vgprValuA_X2_I0+2+0+0:vgprValuA_X2_I0+2+0+0+1], a[4:7]
/*  mfmaIndex:114  */
/* localReadsVacancy: latencyLeft 2 */
	;; [unrolled: 3-line block ×55, first 2 shown]
v_mfma_f32_16x16x16_f16 a[196+0:199+0], v[vgprValuB_X2_I0+14+0+0:vgprValuB_X2_I0+14+0+0+1], v[vgprValuA_X2_I0+0+0+0:vgprValuA_X2_I0+0+0+0+1], a[196:199]
/* numPrefetchIter=0 */
/* dataAtIterA=1 numReadsIterA=3 skipReadsIterA=1 readsPerIterA=7 */
/* dataAtIterB=1 numReadsIterB=3 skipReadsIterB=1 readsPerIterB=8 */


/* iter 3 (last unrolled loop) */

/*  grEndMfmaIndex:0, lwStartMfmaIndex:198, lwEndMfmaIndex:198  */
/*  numMfmaForLR:20, barrierMfmaIndex:203, LocalWritePerMfma:0.405 */
/*  mfmaIndex:168  */
s_waitcnt lgkmcnt(0)                               // lgkmcnt=0 vmcnt=-1wait for prior local read local write old=0, new=0 newLW=0 newLR=0
v_mfma_f32_16x16x16_f16 a[0+0:3+0], v[vgprValuB_X3_I0+0+0+0:vgprValuB_X3_I0+0+0+0+1], v[vgprValuA_X3_I0+0+0+0:vgprValuA_X3_I0+0+0+0+1], a[0:3]
/*  mfmaIndex:169  */
v_mfma_f32_16x16x16_f16 a[4+0:7+0], v[vgprValuB_X3_I0+0+0+0:vgprValuB_X3_I0+0+0+0+1], v[vgprValuA_X3_I0+2+0+0:vgprValuA_X3_I0+2+0+0+1], a[4:7]
/*  mfmaIndex:170  */
	;; [unrolled: 2-line block ×29, first 2 shown]
/* 1 LDS buffer: read-sync-write */
s_waitcnt lgkmcnt(0)                               // 
s_barrier                                          // 
v_mfma_f32_16x16x16_f16 a[116+0:119+0], v[vgprValuB_X3_I0+8+0+0:vgprValuB_X3_I0+8+0+0+1], v[vgprValuA_X3_I0+2+0+0:vgprValuA_X3_I0+2+0+0+1], a[116:119]
/*  mfmaIndex:198  */
s_setprio 3                                        // store optimization
v_mfma_f32_16x16x16_f16 a[120+0:123+0], v[vgprValuB_X3_I0+8+0+0:vgprValuB_X3_I0+8+0+0+1], v[vgprValuA_X3_I0+4+0+0:vgprValuA_X3_I0+4+0+0+1], a[120:123]
/*  mfmaIndex:199  */
v_mfma_f32_16x16x16_f16 a[124+0:127+0], v[vgprValuB_X3_I0+8+0+0:vgprValuB_X3_I0+8+0+0+1], v[vgprValuA_X3_I0+6+0+0:vgprValuA_X3_I0+6+0+0+1], a[124:127]
/*  mfmaIndex:200  */
	;; [unrolled: 2-line block ×4, first 2 shown]
v_mfma_f32_16x16x16_f16 a[136+0:139+0], v[vgprValuB_X3_I0+8+0+0:vgprValuB_X3_I0+8+0+0+1], v[vgprValuA_X3_I0+12+0+0:vgprValuA_X3_I0+12+0+0+1], a[136:139]
s_setprio 0                                        // store optimization
/*  mfmaIndex:203  */
v_mfma_f32_16x16x16_f16 a[164+0:167+0], v[vgprValuB_X3_I0+10+0+0:vgprValuB_X3_I0+10+0+0+1], v[vgprValuA_X3_I0+12+0+0:vgprValuA_X3_I0+12+0+0+1], a[164:167]
/*  mfmaIndex:204  */
s_setprio 3                                        // store optimization
v_mfma_f32_16x16x16_f16 a[160+0:163+0], v[vgprValuB_X3_I0+10+0+0:vgprValuB_X3_I0+10+0+0+1], v[vgprValuA_X3_I0+10+0+0:vgprValuA_X3_I0+10+0+0+1], a[160:163]
/*  mfmaIndex:205  */
v_mfma_f32_16x16x16_f16 a[156+0:159+0], v[vgprValuB_X3_I0+10+0+0:vgprValuB_X3_I0+10+0+0+1], v[vgprValuA_X3_I0+8+0+0:vgprValuA_X3_I0+8+0+0+1], a[156:159]
/*  mfmaIndex:206  */
	;; [unrolled: 2-line block ×19, first 2 shown]
v_mfma_f32_16x16x16_f16 a[196+0:199+0], v[vgprValuB_X3_I0+14+0+0:vgprValuB_X3_I0+14+0+0+1], v[vgprValuA_X3_I0+0+0+0:vgprValuA_X3_I0+0+0+0+1], a[196:199]
/* numPrefetchIter=0 */
/* dataAtIterA=2 numReadsIterA=3 skipReadsIterA=0 readsPerIterA=7 */
/* dataAtIterB=2 numReadsIterB=3 skipReadsIterB=0 readsPerIterB=8 */

PrefetchGlobalLastIterEnd_5:


/******************************************/
/* Tail Loop                              */
/******************************************/


/* local write reset offsets a */


	;; [unrolled: 1-line block ×4, first 2 shown]
/* local write reset offsets b */


	;; [unrolled: 1-line block ×4, first 2 shown]
//numIterL = (((sizeL % LOCAL_DEPTHU) + LOCAL_SPLITU - 1) / LOCAL_SPLITU)
s_and_b32 s[sgprLoopCounterL], 63, s[sgprSizesSum+0] // s[sgprLoopCounterL] = s[sgprSizesSum+0] % 64
s_cmp_eq_u32 s[sgprLoopCounterL], 0x0              // numIterL == 0
s_cbranch_scc1 SkipTailLoopL_8                     // skip to end of tail loop b/c numIter==0
s_mov_b32 s[sgprOrigLoopCounter], 0                // repurpose to count each localRead increment


/* remove stagger offsets for tail loop */

s_mov_b32 s58, 3                                   // 
s_mul_hi_u32 s57, s58, s[sgprGlobalReadIncsA+0]    // 3 * GlobalReadIncs
s_mul_i32 s56, s58, s[sgprGlobalReadIncsA+0]       // 3 * GlobalReadIncs
s_mul_hi_u32 s59, s[sgprStaggerUIter], s[sgprGlobalReadIncsA+0] // StaggerUIter * GlobalReadIncs
s_mul_i32 s58, s[sgprStaggerUIter], s[sgprGlobalReadIncsA+0] // StaggerUIter * GlobalReadIncs
s_sub_u32 s56, s56, s58                            // start offset S in bytes
s_subb_u32 s57, s57, s59                           // start offset S in bytes
s_sub_u32 s56, s56, s[sgprWrapUA]                  // S - WrapU
s_subb_u32 s57, s57, s[sgprWrapUA+1]               // S - WrapU
s_add_u32 s[sgprSrdA+0], s[sgprSrdA+0], s56        // gra SRD += inc(lower)
s_addc_u32  s[sgprSrdA+1], s[sgprSrdA+1], s57      // gra SRD += inc(upper)
s_sub_u32 s[sgprShadowLimitA+0], s[sgprShadowLimitA+0], s56 // limit -= inc)
s_subb_u32 s[sgprShadowLimitA+1], s[sgprShadowLimitA+1], s57 // limit -= inc)
s_cmp_eq_u32 s[sgprShadowLimitA+1], 0              // are we within 2^32?
s_cselect_b32 s[sgprSrdA+2], s[sgprShadowLimitA+0], BufferLimitA // Move shadow to real if we are within 2^32

s_mov_b32 s58, 3                                   // 
s_mul_hi_u32 s57, s58, s[sgprGlobalReadIncsB+0]    // 3 * GlobalReadIncs
s_mul_i32 s56, s58, s[sgprGlobalReadIncsB+0]       // 3 * GlobalReadIncs
s_mul_hi_u32 s59, s[sgprStaggerUIter], s[sgprGlobalReadIncsB+0] // StaggerUIter * GlobalReadIncs
s_mul_i32 s58, s[sgprStaggerUIter], s[sgprGlobalReadIncsB+0] // StaggerUIter * GlobalReadIncs
s_sub_u32 s56, s56, s58                            // start offset S in bytes
s_subb_u32 s57, s57, s59                           // start offset S in bytes
s_sub_u32 s56, s56, s[sgprWrapUB]                  // S - WrapU
s_subb_u32 s57, s57, s[sgprWrapUB+1]               // S - WrapU
s_add_u32 s[sgprSrdB+0], s[sgprSrdB+0], s56        // gra SRD += inc(lower)
s_addc_u32  s[sgprSrdB+1], s[sgprSrdB+1], s57      // gra SRD += inc(upper)
s_sub_u32 s[sgprShadowLimitB+0], s[sgprShadowLimitB+0], s56 // limit -= inc)
s_subb_u32 s[sgprShadowLimitB+1], s[sgprShadowLimitB+1], s57 // limit -= inc)
s_cmp_eq_u32 s[sgprShadowLimitB+1], 0              // are we within 2^32?
s_cselect_b32 s[sgprSrdB+2], s[sgprShadowLimitB+0], BufferLimitB // Move shadow to real if we are within 2^32


/* Update M0 for DTLDS */


	;; [unrolled: 1-line block ×3, first 2 shown]
/* global read a */

/* g2l=0, load component 0 */
_buffer_load_d16_b16 v[vgprG2LA+0+0], v[vgprGlobalReadOffsetA+0], s[sgprSrdA:sgprSrdA+3], 0, offen offset:0 // load one buffer value
/* g2l=0, load component 1 */
_buffer_load_d16_hi_b16 v245, v[vgprGlobalReadOffsetA+0], s[sgprSrdA:sgprSrdA+3], 0, offen offset:2 // load one buffer value
s_waitcnt vmcnt(0)
v_or_b32 v[vgprG2LA+0+0], v[vgprG2LA+0+0], v245 // HasEccHalf: pack
/* g2l=1, load component 0 */
_buffer_load_d16_b16 v[vgprG2LA+1+0], v[vgprGlobalReadOffsetA+1], s[sgprSrdA:sgprSrdA+3], 0, offen offset:0 // load one buffer value
/* g2l=1, load component 1 */
_buffer_load_d16_hi_b16 v245, v[vgprGlobalReadOffsetA+1], s[sgprSrdA:sgprSrdA+3], 0, offen offset:2 // load one buffer value
s_waitcnt vmcnt(0)
v_or_b32 v[vgprG2LA+1+0], v[vgprG2LA+1+0], v245 // HasEccHalf: pack
	;; [unrolled: 6-line block ×28, first 2 shown]


/* Update M0 for DTLDS */



/* global read b */

/* g2l=0, load component 0 */
_buffer_load_d16_b16 v[vgprG2LB+0+0], v[vgprGlobalReadOffsetB+0], s[sgprSrdB:sgprSrdB+3], 0, offen offset:0 // load one buffer value
/* g2l=0, load component 1 */
_buffer_load_d16_hi_b16 v245, v[vgprGlobalReadOffsetB+0], s[sgprSrdB:sgprSrdB+3], 0, offen offset:2 // load one buffer value
s_waitcnt vmcnt(0)
v_or_b32 v[vgprG2LB+0+0], v[vgprG2LB+0+0], v245 // HasEccHalf: pack
/* g2l=1, load component 0 */
_buffer_load_d16_b16 v[vgprG2LB+1+0], v[vgprGlobalReadOffsetB+1], s[sgprSrdB:sgprSrdB+3], 0, offen offset:0 // load one buffer value
/* g2l=1, load component 1 */
_buffer_load_d16_hi_b16 v245, v[vgprGlobalReadOffsetB+1], s[sgprSrdB:sgprSrdB+3], 0, offen offset:2 // load one buffer value
s_waitcnt vmcnt(0)
v_or_b32 v[vgprG2LB+1+0], v[vgprG2LB+1+0], v245 // HasEccHalf: pack
/* g2l=2, load component 0 */
_buffer_load_d16_b16 v[vgprG2LB+2+0], v[vgprGlobalReadOffsetB+2], s[sgprSrdB:sgprSrdB+3], 0, offen offset:0 // load one buffer value
/* g2l=2, load component 1 */
_buffer_load_d16_hi_b16 v245, v[vgprGlobalReadOffsetB+2], s[sgprSrdB:sgprSrdB+3], 0, offen offset:2 // load one buffer value
s_waitcnt vmcnt(0)
v_or_b32 v[vgprG2LB+2+0], v[vgprG2LB+2+0], v245 // HasEccHalf: pack
/* g2l=3, load component 0 */
_buffer_load_d16_b16 v[vgprG2LB+3+0], v[vgprGlobalReadOffsetB+3], s[sgprSrdB:sgprSrdB+3], 0, offen offset:0 // load one buffer value
/* g2l=3, load component 1 */
_buffer_load_d16_hi_b16 v245, v[vgprGlobalReadOffsetB+3], s[sgprSrdB:sgprSrdB+3], 0, offen offset:2 // load one buffer value
s_waitcnt vmcnt(0)
v_or_b32 v[vgprG2LB+3+0], v[vgprG2LB+3+0], v245 // HasEccHalf: pack
/* g2l=4, load component 0 */
_buffer_load_d16_b16 v[vgprG2LB+4+0], v[vgprGlobalReadOffsetB+4], s[sgprSrdB:sgprSrdB+3], 0, offen offset:0 // load one buffer value
/* g2l=4, load component 1 */
_buffer_load_d16_hi_b16 v245, v[vgprGlobalReadOffsetB+4], s[sgprSrdB:sgprSrdB+3], 0, offen offset:2 // load one buffer value
s_waitcnt vmcnt(0)
v_or_b32 v[vgprG2LB+4+0], v[vgprG2LB+4+0], v245 // HasEccHalf: pack
/* g2l=5, load component 0 */
_buffer_load_d16_b16 v[vgprG2LB+5+0], v[vgprGlobalReadOffsetB+5], s[sgprSrdB:sgprSrdB+3], 0, offen offset:0 // load one buffer value
/* g2l=5, load component 1 */
_buffer_load_d16_hi_b16 v245, v[vgprGlobalReadOffsetB+5], s[sgprSrdB:sgprSrdB+3], 0, offen offset:2 // load one buffer value
s_waitcnt vmcnt(0)
v_or_b32 v[vgprG2LB+5+0], v[vgprG2LB+5+0], v245 // HasEccHalf: pack
/* g2l=6, load component 0 */
_buffer_load_d16_b16 v[vgprG2LB+6+0], v[vgprGlobalReadOffsetB+6], s[sgprSrdB:sgprSrdB+3], 0, offen offset:0 // load one buffer value
/* g2l=6, load component 1 */
_buffer_load_d16_hi_b16 v245, v[vgprGlobalReadOffsetB+6], s[sgprSrdB:sgprSrdB+3], 0, offen offset:2 // load one buffer value
s_waitcnt vmcnt(0)
v_or_b32 v[vgprG2LB+6+0], v[vgprG2LB+6+0], v245 // HasEccHalf: pack
/* g2l=7, load component 0 */
_buffer_load_d16_b16 v[vgprG2LB+7+0], v[vgprGlobalReadOffsetB+7], s[sgprSrdB:sgprSrdB+3], 0, offen offset:0 // load one buffer value
/* g2l=7, load component 1 */
_buffer_load_d16_hi_b16 v245, v[vgprGlobalReadOffsetB+7], s[sgprSrdB:sgprSrdB+3], 0, offen offset:2 // load one buffer value
s_waitcnt vmcnt(0)
v_or_b32 v[vgprG2LB+7+0], v[vgprG2LB+7+0], v245 // HasEccHalf: pack
/* g2l=8, load component 0 */
_buffer_load_d16_b16 v[vgprG2LB+8+0], v[vgprGlobalReadOffsetB+8], s[sgprSrdB:sgprSrdB+3], 0, offen offset:0 // load one buffer value
/* g2l=8, load component 1 */
_buffer_load_d16_hi_b16 v245, v[vgprGlobalReadOffsetB+8], s[sgprSrdB:sgprSrdB+3], 0, offen offset:2 // load one buffer value
s_waitcnt vmcnt(0)
v_or_b32 v[vgprG2LB+8+0], v[vgprG2LB+8+0], v245 // HasEccHalf: pack
/* g2l=9, load component 0 */
_buffer_load_d16_b16 v[vgprG2LB+9+0], v[vgprGlobalReadOffsetB+9], s[sgprSrdB:sgprSrdB+3], 0, offen offset:0 // load one buffer value
/* g2l=9, load component 1 */
_buffer_load_d16_hi_b16 v245, v[vgprGlobalReadOffsetB+9], s[sgprSrdB:sgprSrdB+3], 0, offen offset:2 // load one buffer value
s_waitcnt vmcnt(0)
v_or_b32 v[vgprG2LB+9+0], v[vgprG2LB+9+0], v245 // HasEccHalf: pack
/* g2l=10, load component 0 */
_buffer_load_d16_b16 v[vgprG2LB+10+0], v[vgprGlobalReadOffsetB+10], s[sgprSrdB:sgprSrdB+3], 0, offen offset:0 // load one buffer value
/* g2l=10, load component 1 */
_buffer_load_d16_hi_b16 v245, v[vgprGlobalReadOffsetB+10], s[sgprSrdB:sgprSrdB+3], 0, offen offset:2 // load one buffer value
s_waitcnt vmcnt(0)
v_or_b32 v[vgprG2LB+10+0], v[vgprG2LB+10+0], v245 // HasEccHalf: pack
/* g2l=11, load component 0 */
_buffer_load_d16_b16 v[vgprG2LB+11+0], v[vgprGlobalReadOffsetB+11], s[sgprSrdB:sgprSrdB+3], 0, offen offset:0 // load one buffer value
/* g2l=11, load component 1 */
_buffer_load_d16_hi_b16 v245, v[vgprGlobalReadOffsetB+11], s[sgprSrdB:sgprSrdB+3], 0, offen offset:2 // load one buffer value
s_waitcnt vmcnt(0)
v_or_b32 v[vgprG2LB+11+0], v[vgprG2LB+11+0], v245 // HasEccHalf: pack
/* g2l=12, load component 0 */
_buffer_load_d16_b16 v[vgprG2LB+12+0], v[vgprGlobalReadOffsetB+12], s[sgprSrdB:sgprSrdB+3], 0, offen offset:0 // load one buffer value
/* g2l=12, load component 1 */
_buffer_load_d16_hi_b16 v245, v[vgprGlobalReadOffsetB+12], s[sgprSrdB:sgprSrdB+3], 0, offen offset:2 // load one buffer value
s_waitcnt vmcnt(0)
v_or_b32 v[vgprG2LB+12+0], v[vgprG2LB+12+0], v245 // HasEccHalf: pack
/* g2l=13, load component 0 */
_buffer_load_d16_b16 v[vgprG2LB+13+0], v[vgprGlobalReadOffsetB+13], s[sgprSrdB:sgprSrdB+3], 0, offen offset:0 // load one buffer value
/* g2l=13, load component 1 */
_buffer_load_d16_hi_b16 v245, v[vgprGlobalReadOffsetB+13], s[sgprSrdB:sgprSrdB+3], 0, offen offset:2 // load one buffer value
s_waitcnt vmcnt(0)
v_or_b32 v[vgprG2LB+13+0], v[vgprG2LB+13+0], v245 // HasEccHalf: pack
/* g2l=14, load component 0 */
_buffer_load_d16_b16 v[vgprG2LB+14+0], v[vgprGlobalReadOffsetB+14], s[sgprSrdB:sgprSrdB+3], 0, offen offset:0 // load one buffer value
/* g2l=14, load component 1 */
_buffer_load_d16_hi_b16 v245, v[vgprGlobalReadOffsetB+14], s[sgprSrdB:sgprSrdB+3], 0, offen offset:2 // load one buffer value
s_waitcnt vmcnt(0)
v_or_b32 v[vgprG2LB+14+0], v[vgprG2LB+14+0], v245 // HasEccHalf: pack
/* g2l=15, load component 0 */
_buffer_load_d16_b16 v[vgprG2LB+15+0], v[vgprGlobalReadOffsetB+15], s[sgprSrdB:sgprSrdB+3], 0, offen offset:0 // load one buffer value
/* g2l=15, load component 1 */
_buffer_load_d16_hi_b16 v245, v[vgprGlobalReadOffsetB+15], s[sgprSrdB:sgprSrdB+3], 0, offen offset:2 // load one buffer value
s_waitcnt vmcnt(0)
v_or_b32 v[vgprG2LB+15+0], v[vgprG2LB+15+0], v245 // HasEccHalf: pack
/* g2l=16, load component 0 */
_buffer_load_d16_b16 v[vgprG2LB+16+0], v[vgprGlobalReadOffsetB+16], s[sgprSrdB:sgprSrdB+3], 0, offen offset:0 // load one buffer value
/* g2l=16, load component 1 */
_buffer_load_d16_hi_b16 v245, v[vgprGlobalReadOffsetB+16], s[sgprSrdB:sgprSrdB+3], 0, offen offset:2 // load one buffer value
s_waitcnt vmcnt(0)
v_or_b32 v[vgprG2LB+16+0], v[vgprG2LB+16+0], v245 // HasEccHalf: pack
/* g2l=17, load component 0 */
_buffer_load_d16_b16 v[vgprG2LB+17+0], v[vgprGlobalReadOffsetB+17], s[sgprSrdB:sgprSrdB+3], 0, offen offset:0 // load one buffer value
/* g2l=17, load component 1 */
_buffer_load_d16_hi_b16 v245, v[vgprGlobalReadOffsetB+17], s[sgprSrdB:sgprSrdB+3], 0, offen offset:2 // load one buffer value
s_waitcnt vmcnt(0)
v_or_b32 v[vgprG2LB+17+0], v[vgprG2LB+17+0], v245 // HasEccHalf: pack
/* g2l=18, load component 0 */
_buffer_load_d16_b16 v[vgprG2LB+18+0], v[vgprGlobalReadOffsetB+18], s[sgprSrdB:sgprSrdB+3], 0, offen offset:0 // load one buffer value
/* g2l=18, load component 1 */
_buffer_load_d16_hi_b16 v245, v[vgprGlobalReadOffsetB+18], s[sgprSrdB:sgprSrdB+3], 0, offen offset:2 // load one buffer value
s_waitcnt vmcnt(0)
v_or_b32 v[vgprG2LB+18+0], v[vgprG2LB+18+0], v245 // HasEccHalf: pack
/* g2l=19, load component 0 */
_buffer_load_d16_b16 v[vgprG2LB+19+0], v[vgprGlobalReadOffsetB+19], s[sgprSrdB:sgprSrdB+3], 0, offen offset:0 // load one buffer value
/* g2l=19, load component 1 */
_buffer_load_d16_hi_b16 v245, v[vgprGlobalReadOffsetB+19], s[sgprSrdB:sgprSrdB+3], 0, offen offset:2 // load one buffer value
s_waitcnt vmcnt(0)
v_or_b32 v[vgprG2LB+19+0], v[vgprG2LB+19+0], v245 // HasEccHalf: pack
/* g2l=20, load component 0 */
_buffer_load_d16_b16 v[vgprG2LB+20+0], v[vgprGlobalReadOffsetB+20], s[sgprSrdB:sgprSrdB+3], 0, offen offset:0 // load one buffer value
/* g2l=20, load component 1 */
_buffer_load_d16_hi_b16 v245, v[vgprGlobalReadOffsetB+20], s[sgprSrdB:sgprSrdB+3], 0, offen offset:2 // load one buffer value
s_waitcnt vmcnt(0)
v_or_b32 v[vgprG2LB+20+0], v[vgprG2LB+20+0], v245 // HasEccHalf: pack
/* g2l=21, load component 0 */
_buffer_load_d16_b16 v[vgprG2LB+21+0], v[vgprGlobalReadOffsetB+21], s[sgprSrdB:sgprSrdB+3], 0, offen offset:0 // load one buffer value
/* g2l=21, load component 1 */
_buffer_load_d16_hi_b16 v245, v[vgprGlobalReadOffsetB+21], s[sgprSrdB:sgprSrdB+3], 0, offen offset:2 // load one buffer value
s_waitcnt vmcnt(0)
v_or_b32 v[vgprG2LB+21+0], v[vgprG2LB+21+0], v245 // HasEccHalf: pack
/* g2l=22, load component 0 */
_buffer_load_d16_b16 v[vgprG2LB+22+0], v[vgprGlobalReadOffsetB+22], s[sgprSrdB:sgprSrdB+3], 0, offen offset:0 // load one buffer value
/* g2l=22, load component 1 */
_buffer_load_d16_hi_b16 v245, v[vgprGlobalReadOffsetB+22], s[sgprSrdB:sgprSrdB+3], 0, offen offset:2 // load one buffer value
s_waitcnt vmcnt(0)
v_or_b32 v[vgprG2LB+22+0], v[vgprG2LB+22+0], v245 // HasEccHalf: pack
/* g2l=23, load component 0 */
_buffer_load_d16_b16 v[vgprG2LB+23+0], v[vgprGlobalReadOffsetB+23], s[sgprSrdB:sgprSrdB+3], 0, offen offset:0 // load one buffer value
/* g2l=23, load component 1 */
_buffer_load_d16_hi_b16 v245, v[vgprGlobalReadOffsetB+23], s[sgprSrdB:sgprSrdB+3], 0, offen offset:2 // load one buffer value
s_waitcnt vmcnt(0)
v_or_b32 v[vgprG2LB+23+0], v[vgprG2LB+23+0], v245 // HasEccHalf: pack
/* g2l=24, load component 0 */
_buffer_load_d16_b16 v[vgprG2LB+24+0], v[vgprGlobalReadOffsetB+24], s[sgprSrdB:sgprSrdB+3], 0, offen offset:0 // load one buffer value
/* g2l=24, load component 1 */
_buffer_load_d16_hi_b16 v245, v[vgprGlobalReadOffsetB+24], s[sgprSrdB:sgprSrdB+3], 0, offen offset:2 // load one buffer value
s_waitcnt vmcnt(0)
v_or_b32 v[vgprG2LB+24+0], v[vgprG2LB+24+0], v245 // HasEccHalf: pack
/* g2l=25, load component 0 */
_buffer_load_d16_b16 v[vgprG2LB+25+0], v[vgprGlobalReadOffsetB+25], s[sgprSrdB:sgprSrdB+3], 0, offen offset:0 // load one buffer value
/* g2l=25, load component 1 */
_buffer_load_d16_hi_b16 v245, v[vgprGlobalReadOffsetB+25], s[sgprSrdB:sgprSrdB+3], 0, offen offset:2 // load one buffer value
s_waitcnt vmcnt(0)
v_or_b32 v[vgprG2LB+25+0], v[vgprG2LB+25+0], v245 // HasEccHalf: pack
/* g2l=26, load component 0 */
_buffer_load_d16_b16 v[vgprG2LB+26+0], v[vgprGlobalReadOffsetB+26], s[sgprSrdB:sgprSrdB+3], 0, offen offset:0 // load one buffer value
/* g2l=26, load component 1 */
_buffer_load_d16_hi_b16 v245, v[vgprGlobalReadOffsetB+26], s[sgprSrdB:sgprSrdB+3], 0, offen offset:2 // load one buffer value
s_waitcnt vmcnt(0)
v_or_b32 v[vgprG2LB+26+0], v[vgprG2LB+26+0], v245 // HasEccHalf: pack
/* g2l=27, load component 0 */
_buffer_load_d16_b16 v[vgprG2LB+27+0], v[vgprGlobalReadOffsetB+27], s[sgprSrdB:sgprSrdB+3], 0, offen offset:0 // load one buffer value
/* g2l=27, load component 1 */
_buffer_load_d16_hi_b16 v245, v[vgprGlobalReadOffsetB+27], s[sgprSrdB:sgprSrdB+3], 0, offen offset:2 // load one buffer value
s_waitcnt vmcnt(0)
v_or_b32 v[vgprG2LB+27+0], v[vgprG2LB+27+0], v245 // HasEccHalf: pack
/* g2l=28, load component 0 */
_buffer_load_d16_b16 v[vgprG2LB+28+0], v[vgprGlobalReadOffsetB+28], s[sgprSrdB:sgprSrdB+3], 0, offen offset:0 // load one buffer value
/* g2l=28, load component 1 */
_buffer_load_d16_hi_b16 v245, v[vgprGlobalReadOffsetB+28], s[sgprSrdB:sgprSrdB+3], 0, offen offset:2 // load one buffer value
s_waitcnt vmcnt(0)
v_or_b32 v[vgprG2LB+28+0], v[vgprG2LB+28+0], v245 // HasEccHalf: pack
/* g2l=29, load component 0 */
_buffer_load_d16_b16 v[vgprG2LB+29+0], v[vgprGlobalReadOffsetB+29], s[sgprSrdB:sgprSrdB+3], 0, offen offset:0 // load one buffer value
/* g2l=29, load component 1 */
_buffer_load_d16_hi_b16 v245, v[vgprGlobalReadOffsetB+29], s[sgprSrdB:sgprSrdB+3], 0, offen offset:2 // load one buffer value
s_waitcnt vmcnt(0)
v_or_b32 v[vgprG2LB+29+0], v[vgprG2LB+29+0], v245 // HasEccHalf: pack
/* g2l=30, load component 0 */
_buffer_load_d16_b16 v[vgprG2LB+30+0], v[vgprGlobalReadOffsetB+30], s[sgprSrdB:sgprSrdB+3], 0, offen offset:0 // load one buffer value
/* g2l=30, load component 1 */
_buffer_load_d16_hi_b16 v245, v[vgprGlobalReadOffsetB+30], s[sgprSrdB:sgprSrdB+3], 0, offen offset:2 // load one buffer value
s_waitcnt vmcnt(0)
v_or_b32 v[vgprG2LB+30+0], v[vgprG2LB+30+0], v245 // HasEccHalf: pack
/* g2l=31, load component 0 */
_buffer_load_d16_b16 v[vgprG2LB+31+0], v[vgprGlobalReadOffsetB+31], s[sgprSrdB:sgprSrdB+3], 0, offen offset:0 // load one buffer value
/* g2l=31, load component 1 */
_buffer_load_d16_hi_b16 v245, v[vgprGlobalReadOffsetB+31], s[sgprSrdB:sgprSrdB+3], 0, offen offset:2 // load one buffer value
s_waitcnt vmcnt(0)
v_or_b32 v[vgprG2LB+31+0], v[vgprG2LB+31+0], v245 // HasEccHalf: pack

s_waitcnt vmcnt(0)                                 // lgkmcnt=-1 vmcnt=02wait for global read

// Skip force waitcnt0
s_barrier //


/* Done global A/B reads */


	;; [unrolled: 1-line block ×4, first 2 shown]
/* local write a */

_ds_store_b32 v[vgprLocalWriteAddrA], v[vgprG2LA+0] offset:0 // lwoA_0_0_0_0 = (0*LSCA)*(MT0I+PAD) + (0*LSPA) = 0
_ds_store_b32 v[vgprLocalWriteAddrA], v[vgprG2LA+1] offset:1088 // lwoA_0_0_1_0 = (0*LSCA)*(MT0I+PAD) + (1*LSPA) = 1088
_ds_store_b32 v[vgprLocalWriteAddrA], v[vgprG2LA+2] offset:2176 // lwoA_0_0_2_0 = (0*LSCA)*(MT0I+PAD) + (2*LSPA) = 2176
_ds_store_b32 v[vgprLocalWriteAddrA], v[vgprG2LA+3] offset:3264 // lwoA_0_0_3_0 = (0*LSCA)*(MT0I+PAD) + (3*LSPA) = 3264
_ds_store_b32 v[vgprLocalWriteAddrA], v[vgprG2LA+4] offset:4352 // lwoA_0_0_4_0 = (0*LSCA)*(MT0I+PAD) + (4*LSPA) = 4352
_ds_store_b32 v[vgprLocalWriteAddrA], v[vgprG2LA+5] offset:5440 // lwoA_0_0_5_0 = (0*LSCA)*(MT0I+PAD) + (5*LSPA) = 5440
_ds_store_b32 v[vgprLocalWriteAddrA], v[vgprG2LA+6] offset:6528 // lwoA_0_0_6_0 = (0*LSCA)*(MT0I+PAD) + (6*LSPA) = 6528
_ds_store_b32 v[vgprLocalWriteAddrA], v[vgprG2LA+7] offset:7616 // lwoA_0_0_7_0 = (0*LSCA)*(MT0I+PAD) + (7*LSPA) = 7616
_ds_store_b32 v[vgprLocalWriteAddrA], v[vgprG2LA+8] offset:8704 // lwoA_0_0_8_0 = (0*LSCA)*(MT0I+PAD) + (8*LSPA) = 8704
_ds_store_b32 v[vgprLocalWriteAddrA], v[vgprG2LA+9] offset:9792 // lwoA_0_0_9_0 = (0*LSCA)*(MT0I+PAD) + (9*LSPA) = 9792
_ds_store_b32 v[vgprLocalWriteAddrA], v[vgprG2LA+10] offset:10880 // lwoA_0_0_10_0 = (0*LSCA)*(MT0I+PAD) + (10*LSPA) = 10880
_ds_store_b32 v[vgprLocalWriteAddrA], v[vgprG2LA+11] offset:11968 // lwoA_0_0_11_0 = (0*LSCA)*(MT0I+PAD) + (11*LSPA) = 11968
_ds_store_b32 v[vgprLocalWriteAddrA], v[vgprG2LA+12] offset:13056 // lwoA_0_0_12_0 = (0*LSCA)*(MT0I+PAD) + (12*LSPA) = 13056
_ds_store_b32 v[vgprLocalWriteAddrA], v[vgprG2LA+13] offset:14144 // lwoA_0_0_13_0 = (0*LSCA)*(MT0I+PAD) + (13*LSPA) = 14144
_ds_store_b32 v[vgprLocalWriteAddrA], v[vgprG2LA+14] offset:15232 // lwoA_0_0_14_0 = (0*LSCA)*(MT0I+PAD) + (14*LSPA) = 15232
_ds_store_b32 v[vgprLocalWriteAddrA], v[vgprG2LA+15] offset:16320 // lwoA_0_0_15_0 = (0*LSCA)*(MT0I+PAD) + (15*LSPA) = 16320
_ds_store_b32 v[vgprLocalWriteAddrA], v[vgprG2LA+16] offset:17408 // lwoA_0_0_16_0 = (0*LSCA)*(MT0I+PAD) + (16*LSPA) = 17408
_ds_store_b32 v[vgprLocalWriteAddrA], v[vgprG2LA+17] offset:18496 // lwoA_0_0_17_0 = (0*LSCA)*(MT0I+PAD) + (17*LSPA) = 18496
_ds_store_b32 v[vgprLocalWriteAddrA], v[vgprG2LA+18] offset:19584 // lwoA_0_0_18_0 = (0*LSCA)*(MT0I+PAD) + (18*LSPA) = 19584
_ds_store_b32 v[vgprLocalWriteAddrA], v[vgprG2LA+19] offset:20672 // lwoA_0_0_19_0 = (0*LSCA)*(MT0I+PAD) + (19*LSPA) = 20672
_ds_store_b32 v[vgprLocalWriteAddrA], v[vgprG2LA+20] offset:21760 // lwoA_0_0_20_0 = (0*LSCA)*(MT0I+PAD) + (20*LSPA) = 21760
_ds_store_b32 v[vgprLocalWriteAddrA], v[vgprG2LA+21] offset:22848 // lwoA_0_0_21_0 = (0*LSCA)*(MT0I+PAD) + (21*LSPA) = 22848
_ds_store_b32 v[vgprLocalWriteAddrA], v[vgprG2LA+22] offset:23936 // lwoA_0_0_22_0 = (0*LSCA)*(MT0I+PAD) + (22*LSPA) = 23936
_ds_store_b32 v[vgprLocalWriteAddrA], v[vgprG2LA+23] offset:25024 // lwoA_0_0_23_0 = (0*LSCA)*(MT0I+PAD) + (23*LSPA) = 25024
_ds_store_b32 v[vgprLocalWriteAddrA], v[vgprG2LA+24] offset:26112 // lwoA_0_0_24_0 = (0*LSCA)*(MT0I+PAD) + (24*LSPA) = 26112
_ds_store_b32 v[vgprLocalWriteAddrA], v[vgprG2LA+25] offset:27200 // lwoA_0_0_25_0 = (0*LSCA)*(MT0I+PAD) + (25*LSPA) = 27200
_ds_store_b32 v[vgprLocalWriteAddrA], v[vgprG2LA+26] offset:28288 // lwoA_0_0_26_0 = (0*LSCA)*(MT0I+PAD) + (26*LSPA) = 28288
_ds_store_b32 v[vgprLocalWriteAddrA], v[vgprG2LA+27] offset:29376 // lwoA_0_0_27_0 = (0*LSCA)*(MT0I+PAD) + (27*LSPA) = 29376


/* local write b */

_ds_store_b32 v[vgprLocalWriteAddrB], v[vgprG2LB+0] offset:0 // lwoB_0_0_0_0 = (0*LSCB)*(MT1J+PAD) + (0*LSPB) = 0
_ds_store_b32 v[vgprLocalWriteAddrB], v[vgprG2LB+1] offset:1088 // lwoB_0_0_1_0 = (0*LSCB)*(MT1J+PAD) + (1*LSPB) = 1088
_ds_store_b32 v[vgprLocalWriteAddrB], v[vgprG2LB+2] offset:2176 // lwoB_0_0_2_0 = (0*LSCB)*(MT1J+PAD) + (2*LSPB) = 2176
_ds_store_b32 v[vgprLocalWriteAddrB], v[vgprG2LB+3] offset:3264 // lwoB_0_0_3_0 = (0*LSCB)*(MT1J+PAD) + (3*LSPB) = 3264
_ds_store_b32 v[vgprLocalWriteAddrB], v[vgprG2LB+4] offset:4352 // lwoB_0_0_4_0 = (0*LSCB)*(MT1J+PAD) + (4*LSPB) = 4352
_ds_store_b32 v[vgprLocalWriteAddrB], v[vgprG2LB+5] offset:5440 // lwoB_0_0_5_0 = (0*LSCB)*(MT1J+PAD) + (5*LSPB) = 5440
_ds_store_b32 v[vgprLocalWriteAddrB], v[vgprG2LB+6] offset:6528 // lwoB_0_0_6_0 = (0*LSCB)*(MT1J+PAD) + (6*LSPB) = 6528
_ds_store_b32 v[vgprLocalWriteAddrB], v[vgprG2LB+7] offset:7616 // lwoB_0_0_7_0 = (0*LSCB)*(MT1J+PAD) + (7*LSPB) = 7616
_ds_store_b32 v[vgprLocalWriteAddrB], v[vgprG2LB+8] offset:8704 // lwoB_0_0_8_0 = (0*LSCB)*(MT1J+PAD) + (8*LSPB) = 8704
_ds_store_b32 v[vgprLocalWriteAddrB], v[vgprG2LB+9] offset:9792 // lwoB_0_0_9_0 = (0*LSCB)*(MT1J+PAD) + (9*LSPB) = 9792
_ds_store_b32 v[vgprLocalWriteAddrB], v[vgprG2LB+10] offset:10880 // lwoB_0_0_10_0 = (0*LSCB)*(MT1J+PAD) + (10*LSPB) = 10880
_ds_store_b32 v[vgprLocalWriteAddrB], v[vgprG2LB+11] offset:11968 // lwoB_0_0_11_0 = (0*LSCB)*(MT1J+PAD) + (11*LSPB) = 11968
_ds_store_b32 v[vgprLocalWriteAddrB], v[vgprG2LB+12] offset:13056 // lwoB_0_0_12_0 = (0*LSCB)*(MT1J+PAD) + (12*LSPB) = 13056
_ds_store_b32 v[vgprLocalWriteAddrB], v[vgprG2LB+13] offset:14144 // lwoB_0_0_13_0 = (0*LSCB)*(MT1J+PAD) + (13*LSPB) = 14144
_ds_store_b32 v[vgprLocalWriteAddrB], v[vgprG2LB+14] offset:15232 // lwoB_0_0_14_0 = (0*LSCB)*(MT1J+PAD) + (14*LSPB) = 15232
_ds_store_b32 v[vgprLocalWriteAddrB], v[vgprG2LB+15] offset:16320 // lwoB_0_0_15_0 = (0*LSCB)*(MT1J+PAD) + (15*LSPB) = 16320
_ds_store_b32 v[vgprLocalWriteAddrB], v[vgprG2LB+16] offset:17408 // lwoB_0_0_16_0 = (0*LSCB)*(MT1J+PAD) + (16*LSPB) = 17408
_ds_store_b32 v[vgprLocalWriteAddrB], v[vgprG2LB+17] offset:18496 // lwoB_0_0_17_0 = (0*LSCB)*(MT1J+PAD) + (17*LSPB) = 18496
_ds_store_b32 v[vgprLocalWriteAddrB], v[vgprG2LB+18] offset:19584 // lwoB_0_0_18_0 = (0*LSCB)*(MT1J+PAD) + (18*LSPB) = 19584
_ds_store_b32 v[vgprLocalWriteAddrB], v[vgprG2LB+19] offset:20672 // lwoB_0_0_19_0 = (0*LSCB)*(MT1J+PAD) + (19*LSPB) = 20672
_ds_store_b32 v[vgprLocalWriteAddrB], v[vgprG2LB+20] offset:21760 // lwoB_0_0_20_0 = (0*LSCB)*(MT1J+PAD) + (20*LSPB) = 21760
_ds_store_b32 v[vgprLocalWriteAddrB], v[vgprG2LB+21] offset:22848 // lwoB_0_0_21_0 = (0*LSCB)*(MT1J+PAD) + (21*LSPB) = 22848
_ds_store_b32 v[vgprLocalWriteAddrB], v[vgprG2LB+22] offset:23936 // lwoB_0_0_22_0 = (0*LSCB)*(MT1J+PAD) + (22*LSPB) = 23936
_ds_store_b32 v[vgprLocalWriteAddrB], v[vgprG2LB+23] offset:25024 // lwoB_0_0_23_0 = (0*LSCB)*(MT1J+PAD) + (23*LSPB) = 25024
_ds_store_b32 v[vgprLocalWriteAddrB], v[vgprG2LB+24] offset:26112 // lwoB_0_0_24_0 = (0*LSCB)*(MT1J+PAD) + (24*LSPB) = 26112
_ds_store_b32 v[vgprLocalWriteAddrB], v[vgprG2LB+25] offset:27200 // lwoB_0_0_25_0 = (0*LSCB)*(MT1J+PAD) + (25*LSPB) = 27200
_ds_store_b32 v[vgprLocalWriteAddrB], v[vgprG2LB+26] offset:28288 // lwoB_0_0_26_0 = (0*LSCB)*(MT1J+PAD) + (26*LSPB) = 28288
_ds_store_b32 v[vgprLocalWriteAddrB], v[vgprG2LB+27] offset:29376 // lwoB_0_0_27_0 = (0*LSCB)*(MT1J+PAD) + (27*LSPB) = 29376
_ds_store_b32 v[vgprLocalWriteAddrB], v[vgprG2LB+28] offset:30464 // lwoB_0_0_28_0 = (0*LSCB)*(MT1J+PAD) + (28*LSPB) = 30464
_ds_store_b32 v[vgprLocalWriteAddrB], v[vgprG2LB+29] offset:31552 // lwoB_0_0_29_0 = (0*LSCB)*(MT1J+PAD) + (29*LSPB) = 31552
_ds_store_b32 v[vgprLocalWriteAddrB], v[vgprG2LB+30] offset:32640 // lwoB_0_0_30_0 = (0*LSCB)*(MT1J+PAD) + (30*LSPB) = 32640
_ds_store_b32 v[vgprLocalWriteAddrB], v[vgprG2LB+31] offset:33728 // lwoB_0_0_31_0 = (0*LSCB)*(MT1J+PAD) + (31*LSPB) = 33728


/* Recalc local read offsets */


s_waitcnt lgkmcnt(0)                               // lgkmcnt=0 vmcnt=-15wait for local write

// Skip force waitcnt0
s_barrier //


/* local read reset offsets a */


	;; [unrolled: 1-line block ×3, first 2 shown]
/* local read reset offsets b */


	;; [unrolled: 1-line block ×3, first 2 shown]
/* local read init pointers a */


/* localReadInitPointers */


/* local read init pointers b */


/* localReadInitPointers */


/* tail loop: macs */

TailLoopBeginL_6:


/* tail loop unroll iter 0 */


/* local read a */

_ds_load_b64 v[vgprValuA_X0_I0+0:vgprValuA_X0_I0+0+1], v[vgprLocalReadAddrA] offset:0 // L -> Reg lro=0 swapByteOffset=0 ti=32 vIdx=0 rIdx=0 oIdx=0 buffer=0 iui=0
_ds_load_b64 v[vgprValuA_X0_I0+2:vgprValuA_X0_I0+2+1], v[vgprLocalReadAddrA] offset:4352 // L -> Reg lro=0 swapByteOffset=0 ti=32 vIdx=1 rIdx=0 oIdx=0 buffer=0 iui=0
	;; [unrolled: 1-line block ×7, first 2 shown]


/* local read b */

_ds_load_b64 v[vgprValuB_X0_I0+0:vgprValuB_X0_I0+0+1], v[vgprLocalReadAddrB] offset:0 // L -> Reg lro=0 swapByteOffset=0 ti=32 vIdx=0 rIdx=0 oIdx=0 buffer=0 iui=0
_ds_load_b64 v[vgprValuB_X0_I0+2:vgprValuB_X0_I0+2+1], v[vgprLocalReadAddrB] offset:4352 // L -> Reg lro=0 swapByteOffset=0 ti=32 vIdx=1 rIdx=0 oIdx=0 buffer=0 iui=0
	;; [unrolled: 1-line block ×8, first 2 shown]


/* local read inc a */

s_mov_b32 s56, 0x20                                // inc
_v_add_co_u32 v[vgprLocalReadAddrA], vcc, s56, v[vgprLocalReadAddrA] // lrA += 32 (LSU*bpe)


/* local read inc b */

s_mov_b32 s56, 0x20                                // inc
_v_add_co_u32 v[vgprLocalReadAddrB], vcc, s56, v[vgprLocalReadAddrB] // lrB += 32 (LSU*bpe)

s_waitcnt lgkmcnt(0)                               // lgkmcnt=0 vmcnt=-14wait for local read



/* tail loop mfma iter 0: numReadsIterCoalescedA=1, numReadsIterCoalescedB=1 */
v_and_b32 v245, 63, v[vgprSerial]                  // v245 = v[vgprSerial] % 64
v_lshrrev_b32 v245, 4, v245                        // v245 = v245 / 16
v_lshlrev_b32 v245, 0x2, v245                      // v245 = v245 * 4
v_cmp_ge_i32 s[56:57], v245, s[sgprLoopCounterL]   // check K index >= Size L
v_cndmask_b32 v[vgprValuA_X0_I0+0+0+0+0], v[vgprValuA_X0_I0+0+0+0+0], 0x0, s[56:57] // set 0 if K_idx >= sizeL
v_cndmask_b32 v[vgprValuA_X0_I0+2+0+0+0], v[vgprValuA_X0_I0+2+0+0+0], 0x0, s[56:57] // set 0 if K_idx >= sizeL
	;; [unrolled: 1-line block ×7, first 2 shown]
v_cndmask_b32 v[vgprValuB_X0_I0+0+0+0+0], v[vgprValuB_X0_I0+0+0+0+0], 0x0, s[56:57] // set 0 if K_idx >= sizeL
v_cndmask_b32 v[vgprValuB_X0_I0+2+0+0+0], v[vgprValuB_X0_I0+2+0+0+0], 0x0, s[56:57] // set 0 if K_idx >= sizeL
	;; [unrolled: 1-line block ×8, first 2 shown]
v_cndmask_b32 v[vgprValuA_X0_I0+0+0+0+1], v[vgprValuA_X0_I0+0+0+0+1], 0x0, s[56:57] // set 0 if K_idx >= sizeL
v_cndmask_b32 v[vgprValuA_X0_I0+2+0+0+1], v[vgprValuA_X0_I0+2+0+0+1], 0x0, s[56:57] // set 0 if K_idx >= sizeL
v_cndmask_b32 v[vgprValuA_X0_I0+4+0+0+1], v[vgprValuA_X0_I0+4+0+0+1], 0x0, s[56:57] // set 0 if K_idx >= sizeL
v_cndmask_b32 v[vgprValuA_X0_I0+6+0+0+1], v[vgprValuA_X0_I0+6+0+0+1], 0x0, s[56:57] // set 0 if K_idx >= sizeL
v_cndmask_b32 v[vgprValuA_X0_I0+8+0+0+1], v[vgprValuA_X0_I0+8+0+0+1], 0x0, s[56:57] // set 0 if K_idx >= sizeL
v_cndmask_b32 v[vgprValuA_X0_I0+10+0+0+1], v[vgprValuA_X0_I0+10+0+0+1], 0x0, s[56:57] // set 0 if K_idx >= sizeL
v_cndmask_b32 v[vgprValuA_X0_I0+12+0+0+1], v[vgprValuA_X0_I0+12+0+0+1], 0x0, s[56:57] // set 0 if K_idx >= sizeL
v_cndmask_b32 v[vgprValuB_X0_I0+0+0+0+1], v[vgprValuB_X0_I0+0+0+0+1], 0x0, s[56:57] // set 0 if K_idx >= sizeL
v_cndmask_b32 v[vgprValuB_X0_I0+2+0+0+1], v[vgprValuB_X0_I0+2+0+0+1], 0x0, s[56:57] // set 0 if K_idx >= sizeL
	;; [unrolled: 1-line block ×8, first 2 shown]
_v_sub_u32 v245, s[sgprLoopCounterL], v245         // get distance between size and k index
v_cmp_lt_i32 s[56:57], v245, 4                     // set partial 0 if distance less than input per thread
s_and_b32 s58, s[sgprLoopCounterL], 3              // get inputs for edge thread
s_sub_u32 s58, 4, s58                              // use shift to fill 0 for outside element
s_lshl_b32 s58, s58, 4                             // use shift to fill 0 for outside element
v_mov_b32 v246, -1                                 // set 0xffffffff
v_mov_b32 v247, -1                                 // set 0xffffffff
v_lshrrev_b64 v[246:247], s58, v[246:247]          // rshift mask for partial k
v_cndmask_b32 v246, -1, v246, s[56:57]             // select shifted mask for partial k
v_cndmask_b32 v247, -1, v247, s[56:57]             // select shifted mask for partial k
v_and_b32 v[vgprValuA_X0_I0+0+0+0+0], v[vgprValuA_X0_I0+0+0+0+0], v246 // 
v_and_b32 v[vgprValuA_X0_I0+0+0+0+1], v[vgprValuA_X0_I0+0+0+0+1], v247 // 
	;; [unrolled: 1-line block ×14, first 2 shown]
v_and_b32 v[vgprValuB_X0_I0+0+0+0+0], v[vgprValuB_X0_I0+0+0+0+0], v246 // 
v_and_b32 v[vgprValuB_X0_I0+0+0+0+1], v[vgprValuB_X0_I0+0+0+0+1], v247 // 
	;; [unrolled: 1-line block ×16, first 2 shown]
s_nop 1
v_mfma_f32_16x16x16_f16 a[0+0:3+0], v[vgprValuB_X0_I0+0+0+0:vgprValuB_X0_I0+0+0+0+1], v[vgprValuA_X0_I0+0+0+0:vgprValuA_X0_I0+0+0+0+1], a[0:3]
v_mfma_f32_16x16x16_f16 a[4+0:7+0], v[vgprValuB_X0_I0+0+0+0:vgprValuB_X0_I0+0+0+0+1], v[vgprValuA_X0_I0+2+0+0:vgprValuA_X0_I0+2+0+0+1], a[4:7]
	;; [unrolled: 1-line block ×56, first 2 shown]


/* closeLoop loopL finalLoop=0 tailLoop=1 */
s_sub_i32 s[sgprLoopCounterL], s[sgprLoopCounterL], 0x10 // dec counterL (tailLoop)
s_add_u32 s[sgprOrigLoopCounter], s[sgprOrigLoopCounter], 0x10 // inc counterL
s_cmp_le_i32 s[sgprLoopCounterL], 0x0              // counterL<=0
s_cbranch_scc1 TailLoopEndL_7                      // exit LoopL


/* tail loop unroll iter 1 */


/* local read a */

_ds_load_b64 v[vgprValuA_X1_I0+0:vgprValuA_X1_I0+0+1], v[vgprLocalReadAddrA] offset:0 // L -> Reg lro=0 swapByteOffset=0 ti=32 vIdx=0 rIdx=0 oIdx=0 buffer=1 iui=0
_ds_load_b64 v[vgprValuA_X1_I0+2:vgprValuA_X1_I0+2+1], v[vgprLocalReadAddrA] offset:4352 // L -> Reg lro=0 swapByteOffset=0 ti=32 vIdx=1 rIdx=0 oIdx=0 buffer=1 iui=0
	;; [unrolled: 1-line block ×7, first 2 shown]


/* local read b */

_ds_load_b64 v[vgprValuB_X1_I0+0:vgprValuB_X1_I0+0+1], v[vgprLocalReadAddrB] offset:0 // L -> Reg lro=0 swapByteOffset=0 ti=32 vIdx=0 rIdx=0 oIdx=0 buffer=1 iui=0
_ds_load_b64 v[vgprValuB_X1_I0+2:vgprValuB_X1_I0+2+1], v[vgprLocalReadAddrB] offset:4352 // L -> Reg lro=0 swapByteOffset=0 ti=32 vIdx=1 rIdx=0 oIdx=0 buffer=1 iui=0
	;; [unrolled: 1-line block ×8, first 2 shown]


/* local read inc a */

s_mov_b32 s56, 0x20                                // inc
_v_add_co_u32 v[vgprLocalReadAddrA], vcc, s56, v[vgprLocalReadAddrA] // lrA += 32 (LSU*bpe)


/* local read inc b */

s_mov_b32 s56, 0x20                                // inc
_v_add_co_u32 v[vgprLocalReadAddrB], vcc, s56, v[vgprLocalReadAddrB] // lrB += 32 (LSU*bpe)

s_waitcnt lgkmcnt(0)                               // lgkmcnt=0 vmcnt=-14wait for local read


	;; [unrolled: 1-line block ×3, first 2 shown]
/* tail loop mfma iter 1: numReadsIterCoalescedA=1, numReadsIterCoalescedB=1 */
v_and_b32 v245, 63, v[vgprSerial]                  // v245 = v[vgprSerial] % 64
v_lshrrev_b32 v245, 4, v245                        // v245 = v245 / 16
v_lshlrev_b32 v245, 0x2, v245                      // v245 = v245 * 4
v_cmp_ge_i32 s[56:57], v245, s[sgprLoopCounterL]   // check K index >= Size L
v_cndmask_b32 v[vgprValuA_X1_I0+0+0+0+0], v[vgprValuA_X1_I0+0+0+0+0], 0x0, s[56:57] // set 0 if K_idx >= sizeL
v_cndmask_b32 v[vgprValuA_X1_I0+2+0+0+0], v[vgprValuA_X1_I0+2+0+0+0], 0x0, s[56:57] // set 0 if K_idx >= sizeL
	;; [unrolled: 1-line block ×7, first 2 shown]
v_cndmask_b32 v[vgprValuB_X1_I0+0+0+0+0], v[vgprValuB_X1_I0+0+0+0+0], 0x0, s[56:57] // set 0 if K_idx >= sizeL
v_cndmask_b32 v[vgprValuB_X1_I0+2+0+0+0], v[vgprValuB_X1_I0+2+0+0+0], 0x0, s[56:57] // set 0 if K_idx >= sizeL
	;; [unrolled: 1-line block ×8, first 2 shown]
v_cndmask_b32 v[vgprValuA_X1_I0+0+0+0+1], v[vgprValuA_X1_I0+0+0+0+1], 0x0, s[56:57] // set 0 if K_idx >= sizeL
v_cndmask_b32 v[vgprValuA_X1_I0+2+0+0+1], v[vgprValuA_X1_I0+2+0+0+1], 0x0, s[56:57] // set 0 if K_idx >= sizeL
	;; [unrolled: 1-line block ×7, first 2 shown]
v_cndmask_b32 v[vgprValuB_X1_I0+0+0+0+1], v[vgprValuB_X1_I0+0+0+0+1], 0x0, s[56:57] // set 0 if K_idx >= sizeL
v_cndmask_b32 v[vgprValuB_X1_I0+2+0+0+1], v[vgprValuB_X1_I0+2+0+0+1], 0x0, s[56:57] // set 0 if K_idx >= sizeL
	;; [unrolled: 1-line block ×8, first 2 shown]
_v_sub_u32 v245, s[sgprLoopCounterL], v245         // get distance between size and k index
v_cmp_lt_i32 s[56:57], v245, 4                     // set partial 0 if distance less than input per thread
s_and_b32 s58, s[sgprLoopCounterL], 3              // get inputs for edge thread
s_sub_u32 s58, 4, s58                              // use shift to fill 0 for outside element
s_lshl_b32 s58, s58, 4                             // use shift to fill 0 for outside element
v_mov_b32 v246, -1                                 // set 0xffffffff
v_mov_b32 v247, -1                                 // set 0xffffffff
v_lshrrev_b64 v[246:247], s58, v[246:247]          // rshift mask for partial k
v_cndmask_b32 v246, -1, v246, s[56:57]             // select shifted mask for partial k
v_cndmask_b32 v247, -1, v247, s[56:57]             // select shifted mask for partial k
v_and_b32 v[vgprValuA_X1_I0+0+0+0+0], v[vgprValuA_X1_I0+0+0+0+0], v246 // 
v_and_b32 v[vgprValuA_X1_I0+0+0+0+1], v[vgprValuA_X1_I0+0+0+0+1], v247 // 
	;; [unrolled: 1-line block ×14, first 2 shown]
v_and_b32 v[vgprValuB_X1_I0+0+0+0+0], v[vgprValuB_X1_I0+0+0+0+0], v246 // 
v_and_b32 v[vgprValuB_X1_I0+0+0+0+1], v[vgprValuB_X1_I0+0+0+0+1], v247 // 
	;; [unrolled: 1-line block ×16, first 2 shown]
s_nop 1
v_mfma_f32_16x16x16_f16 a[0+0:3+0], v[vgprValuB_X1_I0+0+0+0:vgprValuB_X1_I0+0+0+0+1], v[vgprValuA_X1_I0+0+0+0:vgprValuA_X1_I0+0+0+0+1], a[0:3]
v_mfma_f32_16x16x16_f16 a[4+0:7+0], v[vgprValuB_X1_I0+0+0+0:vgprValuB_X1_I0+0+0+0+1], v[vgprValuA_X1_I0+2+0+0:vgprValuA_X1_I0+2+0+0+1], a[4:7]
	;; [unrolled: 1-line block ×56, first 2 shown]


/* closeLoop loopL finalLoop=0 tailLoop=1 */
s_sub_i32 s[sgprLoopCounterL], s[sgprLoopCounterL], 0x10 // dec counterL (tailLoop)
s_add_u32 s[sgprOrigLoopCounter], s[sgprOrigLoopCounter], 0x10 // inc counterL
s_cmp_le_i32 s[sgprLoopCounterL], 0x0              // counterL<=0
s_cbranch_scc1 TailLoopEndL_7                      // exit LoopL


/* tail loop unroll iter 2 */


/* local read a */

_ds_load_b64 v[vgprValuA_X2_I0+0:vgprValuA_X2_I0+0+1], v[vgprLocalReadAddrA] offset:0 // L -> Reg lro=0 swapByteOffset=0 ti=32 vIdx=0 rIdx=0 oIdx=0 buffer=2 iui=0
_ds_load_b64 v[vgprValuA_X2_I0+2:vgprValuA_X2_I0+2+1], v[vgprLocalReadAddrA] offset:4352 // L -> Reg lro=0 swapByteOffset=0 ti=32 vIdx=1 rIdx=0 oIdx=0 buffer=2 iui=0
_ds_load_b64 v[vgprValuA_X2_I0+4:vgprValuA_X2_I0+4+1], v[vgprLocalReadAddrA] offset:8704 // L -> Reg lro=0 swapByteOffset=0 ti=32 vIdx=2 rIdx=0 oIdx=0 buffer=2 iui=0
_ds_load_b64 v[vgprValuA_X2_I0+6:vgprValuA_X2_I0+6+1], v[vgprLocalReadAddrA] offset:13056 // L -> Reg lro=0 swapByteOffset=0 ti=32 vIdx=3 rIdx=0 oIdx=0 buffer=2 iui=0
_ds_load_b64 v[vgprValuA_X2_I0+8:vgprValuA_X2_I0+8+1], v[vgprLocalReadAddrA] offset:17408 // L -> Reg lro=0 swapByteOffset=0 ti=32 vIdx=4 rIdx=0 oIdx=0 buffer=2 iui=0
_ds_load_b64 v[vgprValuA_X2_I0+10:vgprValuA_X2_I0+10+1], v[vgprLocalReadAddrA] offset:21760 // L -> Reg lro=0 swapByteOffset=0 ti=32 vIdx=5 rIdx=0 oIdx=0 buffer=2 iui=0
_ds_load_b64 v[vgprValuA_X2_I0+12:vgprValuA_X2_I0+12+1], v[vgprLocalReadAddrA] offset:26112 // L -> Reg lro=0 swapByteOffset=0 ti=32 vIdx=6 rIdx=0 oIdx=0 buffer=2 iui=0


/* local read b */

_ds_load_b64 v[vgprValuB_X2_I0+0:vgprValuB_X2_I0+0+1], v[vgprLocalReadAddrB] offset:0 // L -> Reg lro=0 swapByteOffset=0 ti=32 vIdx=0 rIdx=0 oIdx=0 buffer=2 iui=0
_ds_load_b64 v[vgprValuB_X2_I0+2:vgprValuB_X2_I0+2+1], v[vgprLocalReadAddrB] offset:4352 // L -> Reg lro=0 swapByteOffset=0 ti=32 vIdx=1 rIdx=0 oIdx=0 buffer=2 iui=0
	;; [unrolled: 1-line block ×8, first 2 shown]


/* local read inc a */

s_mov_b32 s56, 0x20                                // inc
_v_add_co_u32 v[vgprLocalReadAddrA], vcc, s56, v[vgprLocalReadAddrA] // lrA += 32 (LSU*bpe)


/* local read inc b */

s_mov_b32 s56, 0x20                                // inc
_v_add_co_u32 v[vgprLocalReadAddrB], vcc, s56, v[vgprLocalReadAddrB] // lrB += 32 (LSU*bpe)

s_waitcnt lgkmcnt(0)                               // lgkmcnt=0 vmcnt=-14wait for local read


	;; [unrolled: 1-line block ×3, first 2 shown]
/* tail loop mfma iter 2: numReadsIterCoalescedA=1, numReadsIterCoalescedB=1 */
v_and_b32 v245, 63, v[vgprSerial]                  // v245 = v[vgprSerial] % 64
v_lshrrev_b32 v245, 4, v245                        // v245 = v245 / 16
v_lshlrev_b32 v245, 0x2, v245                      // v245 = v245 * 4
v_cmp_ge_i32 s[56:57], v245, s[sgprLoopCounterL]   // check K index >= Size L
v_cndmask_b32 v[vgprValuA_X2_I0+0+0+0+0], v[vgprValuA_X2_I0+0+0+0+0], 0x0, s[56:57] // set 0 if K_idx >= sizeL
v_cndmask_b32 v[vgprValuA_X2_I0+2+0+0+0], v[vgprValuA_X2_I0+2+0+0+0], 0x0, s[56:57] // set 0 if K_idx >= sizeL
	;; [unrolled: 1-line block ×7, first 2 shown]
v_cndmask_b32 v[vgprValuB_X2_I0+0+0+0+0], v[vgprValuB_X2_I0+0+0+0+0], 0x0, s[56:57] // set 0 if K_idx >= sizeL
v_cndmask_b32 v[vgprValuB_X2_I0+2+0+0+0], v[vgprValuB_X2_I0+2+0+0+0], 0x0, s[56:57] // set 0 if K_idx >= sizeL
	;; [unrolled: 1-line block ×8, first 2 shown]
v_cndmask_b32 v[vgprValuA_X2_I0+0+0+0+1], v[vgprValuA_X2_I0+0+0+0+1], 0x0, s[56:57] // set 0 if K_idx >= sizeL
v_cndmask_b32 v[vgprValuA_X2_I0+2+0+0+1], v[vgprValuA_X2_I0+2+0+0+1], 0x0, s[56:57] // set 0 if K_idx >= sizeL
	;; [unrolled: 1-line block ×7, first 2 shown]
v_cndmask_b32 v[vgprValuB_X2_I0+0+0+0+1], v[vgprValuB_X2_I0+0+0+0+1], 0x0, s[56:57] // set 0 if K_idx >= sizeL
v_cndmask_b32 v[vgprValuB_X2_I0+2+0+0+1], v[vgprValuB_X2_I0+2+0+0+1], 0x0, s[56:57] // set 0 if K_idx >= sizeL
v_cndmask_b32 v[vgprValuB_X2_I0+4+0+0+1], v[vgprValuB_X2_I0+4+0+0+1], 0x0, s[56:57] // set 0 if K_idx >= sizeL
v_cndmask_b32 v[vgprValuB_X2_I0+6+0+0+1], v[vgprValuB_X2_I0+6+0+0+1], 0x0, s[56:57] // set 0 if K_idx >= sizeL
v_cndmask_b32 v[vgprValuB_X2_I0+8+0+0+1], v[vgprValuB_X2_I0+8+0+0+1], 0x0, s[56:57] // set 0 if K_idx >= sizeL
v_cndmask_b32 v[vgprValuB_X2_I0+10+0+0+1], v[vgprValuB_X2_I0+10+0+0+1], 0x0, s[56:57] // set 0 if K_idx >= sizeL
v_cndmask_b32 v[vgprValuB_X2_I0+12+0+0+1], v[vgprValuB_X2_I0+12+0+0+1], 0x0, s[56:57] // set 0 if K_idx >= sizeL
v_cndmask_b32 v[vgprValuB_X2_I0+14+0+0+1], v[vgprValuB_X2_I0+14+0+0+1], 0x0, s[56:57] // set 0 if K_idx >= sizeL
_v_sub_u32 v245, s[sgprLoopCounterL], v245         // get distance between size and k index
v_cmp_lt_i32 s[56:57], v245, 4                     // set partial 0 if distance less than input per thread
s_and_b32 s58, s[sgprLoopCounterL], 3              // get inputs for edge thread
s_sub_u32 s58, 4, s58                              // use shift to fill 0 for outside element
s_lshl_b32 s58, s58, 4                             // use shift to fill 0 for outside element
v_mov_b32 v246, -1                                 // set 0xffffffff
v_mov_b32 v247, -1                                 // set 0xffffffff
v_lshrrev_b64 v[246:247], s58, v[246:247]          // rshift mask for partial k
v_cndmask_b32 v246, -1, v246, s[56:57]             // select shifted mask for partial k
v_cndmask_b32 v247, -1, v247, s[56:57]             // select shifted mask for partial k
v_and_b32 v[vgprValuA_X2_I0+0+0+0+0], v[vgprValuA_X2_I0+0+0+0+0], v246 // 
v_and_b32 v[vgprValuA_X2_I0+0+0+0+1], v[vgprValuA_X2_I0+0+0+0+1], v247 // 
	;; [unrolled: 1-line block ×14, first 2 shown]
v_and_b32 v[vgprValuB_X2_I0+0+0+0+0], v[vgprValuB_X2_I0+0+0+0+0], v246 // 
v_and_b32 v[vgprValuB_X2_I0+0+0+0+1], v[vgprValuB_X2_I0+0+0+0+1], v247 // 
	;; [unrolled: 1-line block ×16, first 2 shown]
s_nop 1
v_mfma_f32_16x16x16_f16 a[0+0:3+0], v[vgprValuB_X2_I0+0+0+0:vgprValuB_X2_I0+0+0+0+1], v[vgprValuA_X2_I0+0+0+0:vgprValuA_X2_I0+0+0+0+1], a[0:3]
v_mfma_f32_16x16x16_f16 a[4+0:7+0], v[vgprValuB_X2_I0+0+0+0:vgprValuB_X2_I0+0+0+0+1], v[vgprValuA_X2_I0+2+0+0:vgprValuA_X2_I0+2+0+0+1], a[4:7]
	;; [unrolled: 1-line block ×56, first 2 shown]


/* closeLoop loopL finalLoop=0 tailLoop=1 */
s_sub_i32 s[sgprLoopCounterL], s[sgprLoopCounterL], 0x10 // dec counterL (tailLoop)
s_add_u32 s[sgprOrigLoopCounter], s[sgprOrigLoopCounter], 0x10 // inc counterL
s_cmp_le_i32 s[sgprLoopCounterL], 0x0              // counterL<=0
s_cbranch_scc1 TailLoopEndL_7                      // exit LoopL


/* tail loop unroll iter 3 */


/* local read a */

_ds_load_b64 v[vgprValuA_X3_I0+0:vgprValuA_X3_I0+0+1], v[vgprLocalReadAddrA] offset:0 // L -> Reg lro=0 swapByteOffset=0 ti=32 vIdx=0 rIdx=0 oIdx=0 buffer=3 iui=0
_ds_load_b64 v[vgprValuA_X3_I0+2:vgprValuA_X3_I0+2+1], v[vgprLocalReadAddrA] offset:4352 // L -> Reg lro=0 swapByteOffset=0 ti=32 vIdx=1 rIdx=0 oIdx=0 buffer=3 iui=0
	;; [unrolled: 1-line block ×7, first 2 shown]


/* local read b */

_ds_load_b64 v[vgprValuB_X3_I0+0:vgprValuB_X3_I0+0+1], v[vgprLocalReadAddrB] offset:0 // L -> Reg lro=0 swapByteOffset=0 ti=32 vIdx=0 rIdx=0 oIdx=0 buffer=3 iui=0
_ds_load_b64 v[vgprValuB_X3_I0+2:vgprValuB_X3_I0+2+1], v[vgprLocalReadAddrB] offset:4352 // L -> Reg lro=0 swapByteOffset=0 ti=32 vIdx=1 rIdx=0 oIdx=0 buffer=3 iui=0
	;; [unrolled: 1-line block ×8, first 2 shown]


/* local read inc a */

s_mov_b32 s56, 0x28                                // inc
_v_add_co_u32 v[vgprLocalReadAddrA], vcc, s56, v[vgprLocalReadAddrA] // lrA += 40 (LSU*bpe)


/* local read inc b */

s_mov_b32 s56, 0x28                                // inc
_v_add_co_u32 v[vgprLocalReadAddrB], vcc, s56, v[vgprLocalReadAddrB] // lrB += 40 (LSU*bpe)

s_waitcnt lgkmcnt(0)                               // lgkmcnt=0 vmcnt=-14wait for local read


	;; [unrolled: 1-line block ×3, first 2 shown]
/* tail loop mfma iter 3: numReadsIterCoalescedA=1, numReadsIterCoalescedB=1 */
v_and_b32 v245, 63, v[vgprSerial]                  // v245 = v[vgprSerial] % 64
v_lshrrev_b32 v245, 4, v245                        // v245 = v245 / 16
v_lshlrev_b32 v245, 0x2, v245                      // v245 = v245 * 4
v_cmp_ge_i32 s[56:57], v245, s[sgprLoopCounterL]   // check K index >= Size L
v_cndmask_b32 v[vgprValuA_X3_I0+0+0+0+0], v[vgprValuA_X3_I0+0+0+0+0], 0x0, s[56:57] // set 0 if K_idx >= sizeL
v_cndmask_b32 v[vgprValuA_X3_I0+2+0+0+0], v[vgprValuA_X3_I0+2+0+0+0], 0x0, s[56:57] // set 0 if K_idx >= sizeL
	;; [unrolled: 1-line block ×7, first 2 shown]
v_cndmask_b32 v[vgprValuB_X3_I0+0+0+0+0], v[vgprValuB_X3_I0+0+0+0+0], 0x0, s[56:57] // set 0 if K_idx >= sizeL
v_cndmask_b32 v[vgprValuB_X3_I0+2+0+0+0], v[vgprValuB_X3_I0+2+0+0+0], 0x0, s[56:57] // set 0 if K_idx >= sizeL
	;; [unrolled: 1-line block ×8, first 2 shown]
v_cndmask_b32 v[vgprValuA_X3_I0+0+0+0+1], v[vgprValuA_X3_I0+0+0+0+1], 0x0, s[56:57] // set 0 if K_idx >= sizeL
v_cndmask_b32 v[vgprValuA_X3_I0+2+0+0+1], v[vgprValuA_X3_I0+2+0+0+1], 0x0, s[56:57] // set 0 if K_idx >= sizeL
	;; [unrolled: 1-line block ×7, first 2 shown]
v_cndmask_b32 v[vgprValuB_X3_I0+0+0+0+1], v[vgprValuB_X3_I0+0+0+0+1], 0x0, s[56:57] // set 0 if K_idx >= sizeL
v_cndmask_b32 v[vgprValuB_X3_I0+2+0+0+1], v[vgprValuB_X3_I0+2+0+0+1], 0x0, s[56:57] // set 0 if K_idx >= sizeL
	;; [unrolled: 1-line block ×8, first 2 shown]
_v_sub_u32 v245, s[sgprLoopCounterL], v245         // get distance between size and k index
v_cmp_lt_i32 s[56:57], v245, 4                     // set partial 0 if distance less than input per thread
s_and_b32 s58, s[sgprLoopCounterL], 3              // get inputs for edge thread
s_sub_u32 s58, 4, s58                              // use shift to fill 0 for outside element
s_lshl_b32 s58, s58, 4                             // use shift to fill 0 for outside element
v_mov_b32 v246, -1                                 // set 0xffffffff
v_mov_b32 v247, -1                                 // set 0xffffffff
v_lshrrev_b64 v[246:247], s58, v[246:247]          // rshift mask for partial k
v_cndmask_b32 v246, -1, v246, s[56:57]             // select shifted mask for partial k
v_cndmask_b32 v247, -1, v247, s[56:57]             // select shifted mask for partial k
v_and_b32 v[vgprValuA_X3_I0+0+0+0+0], v[vgprValuA_X3_I0+0+0+0+0], v246 // 
v_and_b32 v[vgprValuA_X3_I0+0+0+0+1], v[vgprValuA_X3_I0+0+0+0+1], v247 // 
	;; [unrolled: 1-line block ×14, first 2 shown]
v_and_b32 v[vgprValuB_X3_I0+0+0+0+0], v[vgprValuB_X3_I0+0+0+0+0], v246 // 
v_and_b32 v[vgprValuB_X3_I0+0+0+0+1], v[vgprValuB_X3_I0+0+0+0+1], v247 // 
	;; [unrolled: 1-line block ×16, first 2 shown]
s_nop 1
v_mfma_f32_16x16x16_f16 a[0+0:3+0], v[vgprValuB_X3_I0+0+0+0:vgprValuB_X3_I0+0+0+0+1], v[vgprValuA_X3_I0+0+0+0:vgprValuA_X3_I0+0+0+0+1], a[0:3]
v_mfma_f32_16x16x16_f16 a[4+0:7+0], v[vgprValuB_X3_I0+0+0+0:vgprValuB_X3_I0+0+0+0+1], v[vgprValuA_X3_I0+2+0+0:vgprValuA_X3_I0+2+0+0+1], a[4:7]
	;; [unrolled: 1-line block ×56, first 2 shown]


/* closeLoop loopL finalLoop=1 tailLoop=1 */
s_sub_i32 s[sgprLoopCounterL], s[sgprLoopCounterL], 0x10 // dec counterL (tailLoop)
s_add_u32 s[sgprOrigLoopCounter], s[sgprOrigLoopCounter], 0x10 // inc counterL
s_cmp_le_i32 s[sgprLoopCounterL], 0x0              // counterL<=0
s_cbranch_scc0 TailLoopBeginL_6                    // restart LoopL
TailLoopEndL_7:

SkipTailLoopL_8:

Summation_End_30:
s_setprio 0                                        // optimization store
/* endSummation: add vgpr [0...242) to pool */
.set NumFullBlocks, UNDEF
.set WgmRemainder1, UNDEF
.set MagicNumberWgmRemainder1, UNDEF

/* Mapping of Acc register -> C Vgpr register */


	;; [unrolled: 1-line block ×3, first 2 shown]
/* not-LocalSplitU: global write indices */

/* computeStoreVgprs */
v_lshrrev_b32 v4, 6, v[vgprSerial]                 // v4 = v[vgprSerial] / 64
v_and_b32 v1, 63, v[vgprSerial]                    // v1 = v[vgprSerial] % 64
v_lshrrev_b32 v1, 4, v1                            // v1 = v1 / 16
v_lshlrev_b32 v1, 0x2, v1                          // thread0 * continuous_output
v_lshrrev_b32 v5, 1, v4                            // v5 = v4 / 2
v_mul_lo_u32 v5, 0x10, v5                          // wave coordination offset 1
_v_add_lshl_u32 v1, v5, v1, 0                      // coordination 1 = vwb *(wave_id1 + tid1)
v_mul_lo_u32 v2, v1, s[sgprStrideC1J]              //  offset 1
v_mul_lo_u32 v3, v1, s[sgprStrideD1J]              //  offset 1
v_and_b32 v5, 1, v4                                // v5 = v4 % 2
v_mul_lo_u32 v5, 0x10, v5                          // wave coordination offset 0
v_and_b32 v0, 15, v[vgprSerial]                    // v0 = v[vgprSerial] % 16
_v_add_lshl_u32 v0, v5, v0, 0                      // coordination 0 = vwa *(wave_id0 + tid0)
s_mul_i32 s53, 224, s[sgprWorkGroup0]              // wgp0 * MT0
_v_add_u32 v0, s53, v0                             // coord 0 = (tid0/MI_m)*4 + waveG0*MIB_m + MT0*SG0
s_mul_i32 s53, 256, s[sgprWorkGroup1]              // wgp1 * MT1
_v_add_u32 v1, s53, v1                             // coord 1 = (tid0%MI_m) + waveG1*MIB_n + MT1*SG1


/* not-LocalSplitU: global write */

s_cmpk_eq_u32 s[sgprBeta], 0x0                     // Beta == 0
s_cbranch_scc0 GW_Beta_45                          // Branch if Beta is not zero

s_mov_b32 s57, 0x0                                 // STATIC_DIV: divisior=224
s_mul_i32 s56, 0x249, s[sgprSizeI]                 // tmp1 = dividend * magic hi
s_lshl_b64 s[56:57], s[56:57], 0x10                // left shift 16 bits
s_mul_i32 s55, s[sgprSizeI], 0x2493                // tmp0 = dividend * magic lo
s_add_u32 s56, s55, s56                            // add lo
s_addc_u32 s57, s57, 0x0                           // add hi
s_lshr_b64 s[56:57], s[56:57], 0x21                // tmp1 = (dividend * magic) << shift
s_mov_b32 s55, s56                                 // quotient
s_mul_i32 s56, s55, 0xe0                           // quotient*divisor
s_sub_u32 s54, s[sgprSizeI], s56                   // rReg = dividend - quotient*divisor
s_add_u32 s55, -0x1, s[sgprNumWorkGroups0]         // 
s_cmp_ge_u32 s[sgprWorkGroup0], s55                // wg0 >= nwg0-1 ?
s_cselect_b32 s54, s54, 0                          // set rMT0
s_cmpk_gt_u32 s54, 0x0                             // rMT0 > 0
s_cbranch_scc1 GW_B0_E1_36                         // jump if edges required
s_and_b32 s54, 255, s[sgprSizeJ]                   // s54 = s[sgprSizeJ] % 256
s_add_u32 s55, -0x1, s[sgprNumWorkGroups1]         // 
s_cmp_ge_u32 s[sgprWorkGroup1], s55                // wg1 >= nwg1-1
s_cselect_b32 s54, s54, 0                          // set rMT1
s_cmpk_gt_u32 s54, 0x0                             // rMT1 > 0
s_cbranch_scc1 GW_B0_E1_36                         // jump if edges required
GW_B0_E0_33:

/* edge=0, allocate 2 sgpr. perBatchTmpS=2 perBatchMaskS=0 perElementMaskS=0 elementsPerBatch=244 */
/* optSingleColVgpr=1 optSharedColVgpr=0 optSGPRUsage=BufferLoad_Mask optSrdIncForRow=1 */
s_sleep 5 // optimization: sync and wait
s_barrier

/******************************************/
/* Global Write Alpha Batch #0 (d1,d0,vc1,vc0) = */
/*    (0,0,0,0:vw1); (0,1,0,0:vw1); (0,2,0,0:vw1); (0,3,0,0:vw1); (0,4,0,0:vw1); (0,5,0,0:vw1); (0,6,0,0:vw1); (0,0,1,0:vw1); (0,1,1,0:vw1); (0,2,1,0:vw1); (0,3,1,0:vw1); (0,4,1,0:vw1); (0,5,1,0:vw1); (0,6,1,0:vw1); (0,0,2,0:vw1); (0,1,2,0:vw1); (0,2,2,0:vw1); (0,3,2,0:vw1); (0,4,2,0:vw1); (0,5,2,0:vw1); (0,6,2,0:vw1); (0,0,3,0:vw1); (0,1,3,0:vw1); (0,2,3,0:vw1); (0,3,3,0:vw1); (0,4,3,0:vw1); (0,5,3,0:vw1); (0,6,3,0:vw1); (1,0,0,0:vw1); (1,1,0,0:vw1); (1,2,0,0:vw1); (1,3,0,0:vw1); (1,4,0,0:vw1); (1,5,0,0:vw1); (1,6,0,0:vw1); (1,0,1,0:vw1); (1,1,1,0:vw1); (1,2,1,0:vw1); (1,3,1,0:vw1); (1,4,1,0:vw1); (1,5,1,0:vw1); (1,6,1,0:vw1); (1,0,2,0:vw1); (1,1,2,0:vw1); (1,2,2,0:vw1); (1,3,2,0:vw1); (1,4,2,0:vw1); (1,5,2,0:vw1); (1,6,2,0:vw1); (1,0,3,0:vw1); (1,1,3,0:vw1); (1,2,3,0:vw1); (1,3,3,0:vw1); (1,4,3,0:vw1); (1,5,3,0:vw1); (1,6,3,0:vw1); (2,0,0,0:vw1); (2,1,0,0:vw1); (2,2,0,0:vw1); (2,3,0,0:vw1); (2,4,0,0:vw1); (2,5,0,0:vw1); (2,6,0,0:vw1); (2,0,1,0:vw1); (2,1,1,0:vw1); (2,2,1,0:vw1); (2,3,1,0:vw1); (2,4,1,0:vw1); (2,5,1,0:vw1); (2,6,1,0:vw1); (2,0,2,0:vw1); (2,1,2,0:vw1); (2,2,2,0:vw1); (2,3,2,0:vw1); (2,4,2,0:vw1); (2,5,2,0:vw1); (2,6,2,0:vw1); (2,0,3,0:vw1); (2,1,3,0:vw1); (2,2,3,0:vw1); (2,3,3,0:vw1); (2,4,3,0:vw1); (2,5,3,0:vw1); (2,6,3,0:vw1); (3,0,0,0:vw1); (3,1,0,0:vw1); (3,2,0,0:vw1); (3,3,0,0:vw1); (3,4,0,0:vw1); (3,5,0,0:vw1); (3,6,0,0:vw1); (3,0,1,0:vw1); (3,1,1,0:vw1); (3,2,1,0:vw1); (3,3,1,0:vw1); (3,4,1,0:vw1); (3,5,1,0:vw1); (3,6,1,0:vw1); (3,0,2,0:vw1); (3,1,2,0:vw1); (3,2,2,0:vw1); (3,3,2,0:vw1); (3,4,2,0:vw1); (3,5,2,0:vw1); (3,6,2,0:vw1); (3,0,3,0:vw1); (3,1,3,0:vw1); (3,2,3,0:vw1); (3,3,3,0:vw1); (3,4,3,0:vw1); (3,5,3,0:vw1); (3,6,3,0:vw1); (4,0,0,0:vw1); (4,1,0,0:vw1); (4,2,0,0:vw1); (4,3,0,0:vw1); (4,4,0,0:vw1); (4,5,0,0:vw1); (4,6,0,0:vw1); (4,0,1,0:vw1); (4,1,1,0:vw1); (4,2,1,0:vw1); (4,3,1,0:vw1); (4,4,1,0:vw1); (4,5,1,0:vw1); (4,6,1,0:vw1); (4,0,2,0:vw1); (4,1,2,0:vw1); (4,2,2,0:vw1); (4,3,2,0:vw1); (4,4,2,0:vw1); (4,5,2,0:vw1); (4,6,2,0:vw1); (4,0,3,0:vw1); (4,1,3,0:vw1); (4,2,3,0:vw1); (4,3,3,0:vw1); (4,4,3,0:vw1); (4,5,3,0:vw1); (4,6,3,0:vw1); (5,0,0,0:vw1); (5,1,0,0:vw1); (5,2,0,0:vw1); (5,3,0,0:vw1); (5,4,0,0:vw1); (5,5,0,0:vw1); (5,6,0,0:vw1); (5,0,1,0:vw1); (5,1,1,0:vw1); (5,2,1,0:vw1); (5,3,1,0:vw1); (5,4,1,0:vw1); (5,5,1,0:vw1); (5,6,1,0:vw1); (5,0,2,0:vw1); (5,1,2,0:vw1); (5,2,2,0:vw1); (5,3,2,0:vw1); (5,4,2,0:vw1); (5,5,2,0:vw1); (5,6,2,0:vw1); (5,0,3,0:vw1); (5,1,3,0:vw1); (5,2,3,0:vw1); (5,3,3,0:vw1); (5,4,3,0:vw1); (5,5,3,0:vw1); (5,6,3,0:vw1); (6,0,0,0:vw1); (6,1,0,0:vw1); (6,2,0,0:vw1); (6,3,0,0:vw1); (6,4,0,0:vw1); (6,5,0,0:vw1); (6,6,0,0:vw1); (6,0,1,0:vw1); (6,1,1,0:vw1); (6,2,1,0:vw1); (6,3,1,0:vw1); (6,4,1,0:vw1); (6,5,1,0:vw1); (6,6,1,0:vw1); (6,0,2,0:vw1); (6,1,2,0:vw1); (6,2,2,0:vw1); (6,3,2,0:vw1); (6,4,2,0:vw1); (6,5,2,0:vw1); (6,6,2,0:vw1); (6,0,3,0:vw1); (6,1,3,0:vw1); (6,2,3,0:vw1); (6,3,3,0:vw1); (6,4,3,0:vw1); (6,5,3,0:vw1); (6,6,3,0:vw1); (7,0,0,0:vw1); (7,1,0,0:vw1); (7,2,0,0:vw1); (7,3,0,0:vw1); (7,4,0,0:vw1); (7,5,0,0:vw1); (7,6,0,0:vw1); (7,0,1,0:vw1); (7,1,1,0:vw1); (7,2,1,0:vw1); (7,3,1,0:vw1); (7,4,1,0:vw1); (7,5,1,0:vw1); (7,6,1,0:vw1); (7,0,2,0:vw1); (7,1,2,0:vw1); (7,2,2,0:vw1); (7,3,2,0:vw1); (7,4,2,0:vw1); (7,5,2,0:vw1); (7,6,2,0:vw1); (7,0,3,0:vw1); (7,1,3,0:vw1); (7,2,3,0:vw1); (7,3,3,0:vw1); (7,4,3,0:vw1); (7,5,3,0:vw1); (7,6,3,0:vw1) */
/******************************************/

/* calc coords, apply mask, and issue loads (if necessary) */
/* (d1,vc1,d0,vc0)=(0,0,0,0) */
/* (d1,vc1,d0,vc0)=(0,0,1,0) */
/* (d1,vc1,d0,vc0)=(0,0,2,0) */
/* (d1,vc1,d0,vc0)=(0,0,3,0) */
/* (d1,vc1,d0,vc0)=(0,0,4,0) */
/* (d1,vc1,d0,vc0)=(0,0,5,0) */
/* (d1,vc1,d0,vc0)=(0,0,6,0) */
/* (d1,vc1,d0,vc0)=(0,1,0,0) */
/* (d1,vc1,d0,vc0)=(0,1,1,0) */
/* (d1,vc1,d0,vc0)=(0,1,2,0) */
/* (d1,vc1,d0,vc0)=(0,1,3,0) */
/* (d1,vc1,d0,vc0)=(0,1,4,0) */
/* (d1,vc1,d0,vc0)=(0,1,5,0) */
/* (d1,vc1,d0,vc0)=(0,1,6,0) */
/* (d1,vc1,d0,vc0)=(0,2,0,0) */
/* (d1,vc1,d0,vc0)=(0,2,1,0) */
/* (d1,vc1,d0,vc0)=(0,2,2,0) */
/* (d1,vc1,d0,vc0)=(0,2,3,0) */
/* (d1,vc1,d0,vc0)=(0,2,4,0) */
/* (d1,vc1,d0,vc0)=(0,2,5,0) */
/* (d1,vc1,d0,vc0)=(0,2,6,0) */
/* (d1,vc1,d0,vc0)=(0,3,0,0) */
/* (d1,vc1,d0,vc0)=(0,3,1,0) */
/* (d1,vc1,d0,vc0)=(0,3,2,0) */
/* (d1,vc1,d0,vc0)=(0,3,3,0) */
/* (d1,vc1,d0,vc0)=(0,3,4,0) */
/* (d1,vc1,d0,vc0)=(0,3,5,0) */
/* (d1,vc1,d0,vc0)=(0,3,6,0) */
/* (d1,vc1,d0,vc0)=(1,0,0,0) */
/* (d1,vc1,d0,vc0)=(1,0,1,0) */
/* (d1,vc1,d0,vc0)=(1,0,2,0) */
/* (d1,vc1,d0,vc0)=(1,0,3,0) */
/* (d1,vc1,d0,vc0)=(1,0,4,0) */
/* (d1,vc1,d0,vc0)=(1,0,5,0) */
/* (d1,vc1,d0,vc0)=(1,0,6,0) */
/* (d1,vc1,d0,vc0)=(1,1,0,0) */
/* (d1,vc1,d0,vc0)=(1,1,1,0) */
/* (d1,vc1,d0,vc0)=(1,1,2,0) */
/* (d1,vc1,d0,vc0)=(1,1,3,0) */
/* (d1,vc1,d0,vc0)=(1,1,4,0) */
/* (d1,vc1,d0,vc0)=(1,1,5,0) */
/* (d1,vc1,d0,vc0)=(1,1,6,0) */
/* (d1,vc1,d0,vc0)=(1,2,0,0) */
/* (d1,vc1,d0,vc0)=(1,2,1,0) */
/* (d1,vc1,d0,vc0)=(1,2,2,0) */
/* (d1,vc1,d0,vc0)=(1,2,3,0) */
/* (d1,vc1,d0,vc0)=(1,2,4,0) */
/* (d1,vc1,d0,vc0)=(1,2,5,0) */
/* (d1,vc1,d0,vc0)=(1,2,6,0) */
/* (d1,vc1,d0,vc0)=(1,3,0,0) */
/* (d1,vc1,d0,vc0)=(1,3,1,0) */
/* (d1,vc1,d0,vc0)=(1,3,2,0) */
/* (d1,vc1,d0,vc0)=(1,3,3,0) */
/* (d1,vc1,d0,vc0)=(1,3,4,0) */
/* (d1,vc1,d0,vc0)=(1,3,5,0) */
/* (d1,vc1,d0,vc0)=(1,3,6,0) */
/* (d1,vc1,d0,vc0)=(2,0,0,0) */
/* (d1,vc1,d0,vc0)=(2,0,1,0) */
/* (d1,vc1,d0,vc0)=(2,0,2,0) */
/* (d1,vc1,d0,vc0)=(2,0,3,0) */
/* (d1,vc1,d0,vc0)=(2,0,4,0) */
/* (d1,vc1,d0,vc0)=(2,0,5,0) */
/* (d1,vc1,d0,vc0)=(2,0,6,0) */
/* (d1,vc1,d0,vc0)=(2,1,0,0) */
/* (d1,vc1,d0,vc0)=(2,1,1,0) */
/* (d1,vc1,d0,vc0)=(2,1,2,0) */
/* (d1,vc1,d0,vc0)=(2,1,3,0) */
/* (d1,vc1,d0,vc0)=(2,1,4,0) */
/* (d1,vc1,d0,vc0)=(2,1,5,0) */
/* (d1,vc1,d0,vc0)=(2,1,6,0) */
/* (d1,vc1,d0,vc0)=(2,2,0,0) */
/* (d1,vc1,d0,vc0)=(2,2,1,0) */
/* (d1,vc1,d0,vc0)=(2,2,2,0) */
/* (d1,vc1,d0,vc0)=(2,2,3,0) */
/* (d1,vc1,d0,vc0)=(2,2,4,0) */
/* (d1,vc1,d0,vc0)=(2,2,5,0) */
/* (d1,vc1,d0,vc0)=(2,2,6,0) */
/* (d1,vc1,d0,vc0)=(2,3,0,0) */
/* (d1,vc1,d0,vc0)=(2,3,1,0) */
/* (d1,vc1,d0,vc0)=(2,3,2,0) */
/* (d1,vc1,d0,vc0)=(2,3,3,0) */
/* (d1,vc1,d0,vc0)=(2,3,4,0) */
/* (d1,vc1,d0,vc0)=(2,3,5,0) */
/* (d1,vc1,d0,vc0)=(2,3,6,0) */
/* (d1,vc1,d0,vc0)=(3,0,0,0) */
/* (d1,vc1,d0,vc0)=(3,0,1,0) */
/* (d1,vc1,d0,vc0)=(3,0,2,0) */
/* (d1,vc1,d0,vc0)=(3,0,3,0) */
/* (d1,vc1,d0,vc0)=(3,0,4,0) */
/* (d1,vc1,d0,vc0)=(3,0,5,0) */
/* (d1,vc1,d0,vc0)=(3,0,6,0) */
/* (d1,vc1,d0,vc0)=(3,1,0,0) */
/* (d1,vc1,d0,vc0)=(3,1,1,0) */
/* (d1,vc1,d0,vc0)=(3,1,2,0) */
/* (d1,vc1,d0,vc0)=(3,1,3,0) */
/* (d1,vc1,d0,vc0)=(3,1,4,0) */
/* (d1,vc1,d0,vc0)=(3,1,5,0) */
/* (d1,vc1,d0,vc0)=(3,1,6,0) */
/* (d1,vc1,d0,vc0)=(3,2,0,0) */
/* (d1,vc1,d0,vc0)=(3,2,1,0) */
/* (d1,vc1,d0,vc0)=(3,2,2,0) */
/* (d1,vc1,d0,vc0)=(3,2,3,0) */
/* (d1,vc1,d0,vc0)=(3,2,4,0) */
/* (d1,vc1,d0,vc0)=(3,2,5,0) */
/* (d1,vc1,d0,vc0)=(3,2,6,0) */
/* (d1,vc1,d0,vc0)=(3,3,0,0) */
/* (d1,vc1,d0,vc0)=(3,3,1,0) */
/* (d1,vc1,d0,vc0)=(3,3,2,0) */
/* (d1,vc1,d0,vc0)=(3,3,3,0) */
/* (d1,vc1,d0,vc0)=(3,3,4,0) */
/* (d1,vc1,d0,vc0)=(3,3,5,0) */
/* (d1,vc1,d0,vc0)=(3,3,6,0) */
/* (d1,vc1,d0,vc0)=(4,0,0,0) */
/* (d1,vc1,d0,vc0)=(4,0,1,0) */
/* (d1,vc1,d0,vc0)=(4,0,2,0) */
/* (d1,vc1,d0,vc0)=(4,0,3,0) */
/* (d1,vc1,d0,vc0)=(4,0,4,0) */
/* (d1,vc1,d0,vc0)=(4,0,5,0) */
/* (d1,vc1,d0,vc0)=(4,0,6,0) */
/* (d1,vc1,d0,vc0)=(4,1,0,0) */
/* (d1,vc1,d0,vc0)=(4,1,1,0) */
/* (d1,vc1,d0,vc0)=(4,1,2,0) */
/* (d1,vc1,d0,vc0)=(4,1,3,0) */
/* (d1,vc1,d0,vc0)=(4,1,4,0) */
/* (d1,vc1,d0,vc0)=(4,1,5,0) */
/* (d1,vc1,d0,vc0)=(4,1,6,0) */
/* (d1,vc1,d0,vc0)=(4,2,0,0) */
/* (d1,vc1,d0,vc0)=(4,2,1,0) */
/* (d1,vc1,d0,vc0)=(4,2,2,0) */
/* (d1,vc1,d0,vc0)=(4,2,3,0) */
/* (d1,vc1,d0,vc0)=(4,2,4,0) */
/* (d1,vc1,d0,vc0)=(4,2,5,0) */
/* (d1,vc1,d0,vc0)=(4,2,6,0) */
/* (d1,vc1,d0,vc0)=(4,3,0,0) */
/* (d1,vc1,d0,vc0)=(4,3,1,0) */
/* (d1,vc1,d0,vc0)=(4,3,2,0) */
/* (d1,vc1,d0,vc0)=(4,3,3,0) */
/* (d1,vc1,d0,vc0)=(4,3,4,0) */
/* (d1,vc1,d0,vc0)=(4,3,5,0) */
/* (d1,vc1,d0,vc0)=(4,3,6,0) */
/* (d1,vc1,d0,vc0)=(5,0,0,0) */
/* (d1,vc1,d0,vc0)=(5,0,1,0) */
/* (d1,vc1,d0,vc0)=(5,0,2,0) */
/* (d1,vc1,d0,vc0)=(5,0,3,0) */
/* (d1,vc1,d0,vc0)=(5,0,4,0) */
/* (d1,vc1,d0,vc0)=(5,0,5,0) */
/* (d1,vc1,d0,vc0)=(5,0,6,0) */
/* (d1,vc1,d0,vc0)=(5,1,0,0) */
/* (d1,vc1,d0,vc0)=(5,1,1,0) */
/* (d1,vc1,d0,vc0)=(5,1,2,0) */
/* (d1,vc1,d0,vc0)=(5,1,3,0) */
/* (d1,vc1,d0,vc0)=(5,1,4,0) */
/* (d1,vc1,d0,vc0)=(5,1,5,0) */
/* (d1,vc1,d0,vc0)=(5,1,6,0) */
/* (d1,vc1,d0,vc0)=(5,2,0,0) */
/* (d1,vc1,d0,vc0)=(5,2,1,0) */
/* (d1,vc1,d0,vc0)=(5,2,2,0) */
/* (d1,vc1,d0,vc0)=(5,2,3,0) */
/* (d1,vc1,d0,vc0)=(5,2,4,0) */
/* (d1,vc1,d0,vc0)=(5,2,5,0) */
/* (d1,vc1,d0,vc0)=(5,2,6,0) */
/* (d1,vc1,d0,vc0)=(5,3,0,0) */
/* (d1,vc1,d0,vc0)=(5,3,1,0) */
/* (d1,vc1,d0,vc0)=(5,3,2,0) */
/* (d1,vc1,d0,vc0)=(5,3,3,0) */
/* (d1,vc1,d0,vc0)=(5,3,4,0) */
/* (d1,vc1,d0,vc0)=(5,3,5,0) */
/* (d1,vc1,d0,vc0)=(5,3,6,0) */
/* (d1,vc1,d0,vc0)=(6,0,0,0) */
/* (d1,vc1,d0,vc0)=(6,0,1,0) */
/* (d1,vc1,d0,vc0)=(6,0,2,0) */
/* (d1,vc1,d0,vc0)=(6,0,3,0) */
/* (d1,vc1,d0,vc0)=(6,0,4,0) */
/* (d1,vc1,d0,vc0)=(6,0,5,0) */
/* (d1,vc1,d0,vc0)=(6,0,6,0) */
/* (d1,vc1,d0,vc0)=(6,1,0,0) */
/* (d1,vc1,d0,vc0)=(6,1,1,0) */
/* (d1,vc1,d0,vc0)=(6,1,2,0) */
/* (d1,vc1,d0,vc0)=(6,1,3,0) */
/* (d1,vc1,d0,vc0)=(6,1,4,0) */
/* (d1,vc1,d0,vc0)=(6,1,5,0) */
/* (d1,vc1,d0,vc0)=(6,1,6,0) */
/* (d1,vc1,d0,vc0)=(6,2,0,0) */
/* (d1,vc1,d0,vc0)=(6,2,1,0) */
/* (d1,vc1,d0,vc0)=(6,2,2,0) */
/* (d1,vc1,d0,vc0)=(6,2,3,0) */
/* (d1,vc1,d0,vc0)=(6,2,4,0) */
/* (d1,vc1,d0,vc0)=(6,2,5,0) */
/* (d1,vc1,d0,vc0)=(6,2,6,0) */
/* (d1,vc1,d0,vc0)=(6,3,0,0) */
/* (d1,vc1,d0,vc0)=(6,3,1,0) */
/* (d1,vc1,d0,vc0)=(6,3,2,0) */
/* (d1,vc1,d0,vc0)=(6,3,3,0) */
/* (d1,vc1,d0,vc0)=(6,3,4,0) */
/* (d1,vc1,d0,vc0)=(6,3,5,0) */
/* (d1,vc1,d0,vc0)=(6,3,6,0) */
/* (d1,vc1,d0,vc0)=(7,0,0,0) */
/* (d1,vc1,d0,vc0)=(7,0,1,0) */
/* (d1,vc1,d0,vc0)=(7,0,2,0) */
/* (d1,vc1,d0,vc0)=(7,0,3,0) */
/* (d1,vc1,d0,vc0)=(7,0,4,0) */
/* (d1,vc1,d0,vc0)=(7,0,5,0) */
/* (d1,vc1,d0,vc0)=(7,0,6,0) */
/* (d1,vc1,d0,vc0)=(7,1,0,0) */
/* (d1,vc1,d0,vc0)=(7,1,1,0) */
/* (d1,vc1,d0,vc0)=(7,1,2,0) */
/* (d1,vc1,d0,vc0)=(7,1,3,0) */
/* (d1,vc1,d0,vc0)=(7,1,4,0) */
/* (d1,vc1,d0,vc0)=(7,1,5,0) */
/* (d1,vc1,d0,vc0)=(7,1,6,0) */
/* (d1,vc1,d0,vc0)=(7,2,0,0) */
/* (d1,vc1,d0,vc0)=(7,2,1,0) */
/* (d1,vc1,d0,vc0)=(7,2,2,0) */
/* (d1,vc1,d0,vc0)=(7,2,3,0) */
/* (d1,vc1,d0,vc0)=(7,2,4,0) */
/* (d1,vc1,d0,vc0)=(7,2,5,0) */
/* (d1,vc1,d0,vc0)=(7,2,6,0) */
/* (d1,vc1,d0,vc0)=(7,3,0,0) */
/* (d1,vc1,d0,vc0)=(7,3,1,0) */
/* (d1,vc1,d0,vc0)=(7,3,2,0) */
/* (d1,vc1,d0,vc0)=(7,3,3,0) */
/* (d1,vc1,d0,vc0)=(7,3,4,0) */
/* (d1,vc1,d0,vc0)=(7,3,5,0) */
/* (d1,vc1,d0,vc0)=(7,3,6,0) */
_v_add_lshl_u32 v6, v3, v0, 0x1                    // optSingleColVgpr scaleToBpe: sharedAddrVgpr <- cinRowPtr + coord0, scaled by BPE. BSHERE:coord0=0, coord0Vgpr=0
v_accvgpr_read_b32 v[vgprValuC+8], acc0 // copy acc to vreg[0]
v_accvgpr_read_b32 v[vgprValuC+9], acc4 // copy acc to vreg[1]
v_accvgpr_read_b32 v[vgprValuC+10], acc8 // copy acc to vreg[2]
v_accvgpr_read_b32 v[vgprValuC+11], acc12 // copy acc to vreg[3]
v_accvgpr_read_b32 v[vgprValuC+12], acc16 // copy acc to vreg[4]
v_accvgpr_read_b32 v[vgprValuC+13], acc20 // copy acc to vreg[5]
v_accvgpr_read_b32 v[vgprValuC+14], acc24 // copy acc to vreg[6]
v_accvgpr_read_b32 v[vgprValuC+15], acc1 // copy acc to vreg[7]
v_accvgpr_read_b32 v[vgprValuC+16], acc5 // copy acc to vreg[8]
v_accvgpr_read_b32 v[vgprValuC+17], acc9 // copy acc to vreg[9]
v_accvgpr_read_b32 v[vgprValuC+18], acc13 // copy acc to vreg[10]
v_accvgpr_read_b32 v[vgprValuC+19], acc17 // copy acc to vreg[11]
v_accvgpr_read_b32 v[vgprValuC+20], acc21 // copy acc to vreg[12]
v_accvgpr_read_b32 v[vgprValuC+21], acc25 // copy acc to vreg[13]
v_accvgpr_read_b32 v[vgprValuC+22], acc2 // copy acc to vreg[14]
v_accvgpr_read_b32 v[vgprValuC+23], acc6 // copy acc to vreg[15]
v_accvgpr_read_b32 v[vgprValuC+24], acc10 // copy acc to vreg[16]
v_accvgpr_read_b32 v[vgprValuC+25], acc14 // copy acc to vreg[17]
v_accvgpr_read_b32 v[vgprValuC+26], acc18 // copy acc to vreg[18]
v_accvgpr_read_b32 v[vgprValuC+27], acc22 // copy acc to vreg[19]
v_accvgpr_read_b32 v[vgprValuC+28], acc26 // copy acc to vreg[20]
v_accvgpr_read_b32 v[vgprValuC+29], acc3 // copy acc to vreg[21]
v_accvgpr_read_b32 v[vgprValuC+30], acc7 // copy acc to vreg[22]
v_accvgpr_read_b32 v[vgprValuC+31], acc11 // copy acc to vreg[23]
v_accvgpr_read_b32 v[vgprValuC+32], acc15 // copy acc to vreg[24]
v_accvgpr_read_b32 v[vgprValuC+33], acc19 // copy acc to vreg[25]
v_accvgpr_read_b32 v[vgprValuC+34], acc23 // copy acc to vreg[26]
v_accvgpr_read_b32 v[vgprValuC+35], acc27 // copy acc to vreg[27]
v_accvgpr_read_b32 v[vgprValuC+36], acc28 // copy acc to vreg[28]
v_accvgpr_read_b32 v[vgprValuC+37], acc32 // copy acc to vreg[29]
v_accvgpr_read_b32 v[vgprValuC+38], acc36 // copy acc to vreg[30]
v_accvgpr_read_b32 v[vgprValuC+39], acc40 // copy acc to vreg[31]
v_accvgpr_read_b32 v[vgprValuC+40], acc44 // copy acc to vreg[32]
v_accvgpr_read_b32 v[vgprValuC+41], acc48 // copy acc to vreg[33]
v_accvgpr_read_b32 v[vgprValuC+42], acc52 // copy acc to vreg[34]
v_accvgpr_read_b32 v[vgprValuC+43], acc29 // copy acc to vreg[35]
v_accvgpr_read_b32 v[vgprValuC+44], acc33 // copy acc to vreg[36]
v_accvgpr_read_b32 v[vgprValuC+45], acc37 // copy acc to vreg[37]
v_accvgpr_read_b32 v[vgprValuC+46], acc41 // copy acc to vreg[38]
v_accvgpr_read_b32 v[vgprValuC+47], acc45 // copy acc to vreg[39]
v_accvgpr_read_b32 v[vgprValuC+48], acc49 // copy acc to vreg[40]
v_accvgpr_read_b32 v[vgprValuC+49], acc53 // copy acc to vreg[41]
v_accvgpr_read_b32 v[vgprValuC+50], acc30 // copy acc to vreg[42]
v_accvgpr_read_b32 v[vgprValuC+51], acc34 // copy acc to vreg[43]
v_accvgpr_read_b32 v[vgprValuC+52], acc38 // copy acc to vreg[44]
v_accvgpr_read_b32 v[vgprValuC+53], acc42 // copy acc to vreg[45]
v_accvgpr_read_b32 v[vgprValuC+54], acc46 // copy acc to vreg[46]
v_accvgpr_read_b32 v[vgprValuC+55], acc50 // copy acc to vreg[47]
v_accvgpr_read_b32 v[vgprValuC+56], acc54 // copy acc to vreg[48]
v_accvgpr_read_b32 v[vgprValuC+57], acc31 // copy acc to vreg[49]
v_accvgpr_read_b32 v[vgprValuC+58], acc35 // copy acc to vreg[50]
v_accvgpr_read_b32 v[vgprValuC+59], acc39 // copy acc to vreg[51]
v_accvgpr_read_b32 v[vgprValuC+60], acc43 // copy acc to vreg[52]
v_accvgpr_read_b32 v[vgprValuC+61], acc47 // copy acc to vreg[53]
v_accvgpr_read_b32 v[vgprValuC+62], acc51 // copy acc to vreg[54]
v_accvgpr_read_b32 v[vgprValuC+63], acc55 // copy acc to vreg[55]
v_accvgpr_read_b32 v[vgprValuC+64], acc56 // copy acc to vreg[56]
v_accvgpr_read_b32 v[vgprValuC+65], acc60 // copy acc to vreg[57]
v_accvgpr_read_b32 v[vgprValuC+66], acc64 // copy acc to vreg[58]
v_accvgpr_read_b32 v[vgprValuC+67], acc68 // copy acc to vreg[59]
v_accvgpr_read_b32 v[vgprValuC+68], acc72 // copy acc to vreg[60]
v_accvgpr_read_b32 v[vgprValuC+69], acc76 // copy acc to vreg[61]
v_accvgpr_read_b32 v[vgprValuC+70], acc80 // copy acc to vreg[62]
v_accvgpr_read_b32 v[vgprValuC+71], acc57 // copy acc to vreg[63]
v_accvgpr_read_b32 v[vgprValuC+72], acc61 // copy acc to vreg[64]
v_accvgpr_read_b32 v[vgprValuC+73], acc65 // copy acc to vreg[65]
v_accvgpr_read_b32 v[vgprValuC+74], acc69 // copy acc to vreg[66]
v_accvgpr_read_b32 v[vgprValuC+75], acc73 // copy acc to vreg[67]
v_accvgpr_read_b32 v[vgprValuC+76], acc77 // copy acc to vreg[68]
v_accvgpr_read_b32 v[vgprValuC+77], acc81 // copy acc to vreg[69]
v_accvgpr_read_b32 v[vgprValuC+78], acc58 // copy acc to vreg[70]
v_accvgpr_read_b32 v[vgprValuC+79], acc62 // copy acc to vreg[71]
v_accvgpr_read_b32 v[vgprValuC+80], acc66 // copy acc to vreg[72]
v_accvgpr_read_b32 v[vgprValuC+81], acc70 // copy acc to vreg[73]
v_accvgpr_read_b32 v[vgprValuC+82], acc74 // copy acc to vreg[74]
v_accvgpr_read_b32 v[vgprValuC+83], acc78 // copy acc to vreg[75]
v_accvgpr_read_b32 v[vgprValuC+84], acc82 // copy acc to vreg[76]
v_accvgpr_read_b32 v[vgprValuC+85], acc59 // copy acc to vreg[77]
v_accvgpr_read_b32 v[vgprValuC+86], acc63 // copy acc to vreg[78]
v_accvgpr_read_b32 v[vgprValuC+87], acc67 // copy acc to vreg[79]
v_accvgpr_read_b32 v[vgprValuC+88], acc71 // copy acc to vreg[80]
v_accvgpr_read_b32 v[vgprValuC+89], acc75 // copy acc to vreg[81]
v_accvgpr_read_b32 v[vgprValuC+90], acc79 // copy acc to vreg[82]
v_accvgpr_read_b32 v[vgprValuC+91], acc83 // copy acc to vreg[83]
v_accvgpr_read_b32 v[vgprValuC+92], acc84 // copy acc to vreg[84]
v_accvgpr_read_b32 v[vgprValuC+93], acc88 // copy acc to vreg[85]
v_accvgpr_read_b32 v[vgprValuC+94], acc92 // copy acc to vreg[86]
v_accvgpr_read_b32 v[vgprValuC+95], acc96 // copy acc to vreg[87]
v_accvgpr_read_b32 v[vgprValuC+96], acc100 // copy acc to vreg[88]
v_accvgpr_read_b32 v[vgprValuC+97], acc104 // copy acc to vreg[89]
v_accvgpr_read_b32 v[vgprValuC+98], acc108 // copy acc to vreg[90]
v_accvgpr_read_b32 v[vgprValuC+99], acc85 // copy acc to vreg[91]
v_accvgpr_read_b32 v[vgprValuC+100], acc89 // copy acc to vreg[92]
v_accvgpr_read_b32 v[vgprValuC+101], acc93 // copy acc to vreg[93]
v_accvgpr_read_b32 v[vgprValuC+102], acc97 // copy acc to vreg[94]
v_accvgpr_read_b32 v[vgprValuC+103], acc101 // copy acc to vreg[95]
v_accvgpr_read_b32 v[vgprValuC+104], acc105 // copy acc to vreg[96]
v_accvgpr_read_b32 v[vgprValuC+105], acc109 // copy acc to vreg[97]
v_accvgpr_read_b32 v[vgprValuC+106], acc86 // copy acc to vreg[98]
v_accvgpr_read_b32 v[vgprValuC+107], acc90 // copy acc to vreg[99]
v_accvgpr_read_b32 v[vgprValuC+108], acc94 // copy acc to vreg[100]
v_accvgpr_read_b32 v[vgprValuC+109], acc98 // copy acc to vreg[101]
v_accvgpr_read_b32 v[vgprValuC+110], acc102 // copy acc to vreg[102]
v_accvgpr_read_b32 v[vgprValuC+111], acc106 // copy acc to vreg[103]
v_accvgpr_read_b32 v[vgprValuC+112], acc110 // copy acc to vreg[104]
v_accvgpr_read_b32 v[vgprValuC+113], acc87 // copy acc to vreg[105]
v_accvgpr_read_b32 v[vgprValuC+114], acc91 // copy acc to vreg[106]
v_accvgpr_read_b32 v[vgprValuC+115], acc95 // copy acc to vreg[107]
v_accvgpr_read_b32 v[vgprValuC+116], acc99 // copy acc to vreg[108]
v_accvgpr_read_b32 v[vgprValuC+117], acc103 // copy acc to vreg[109]
v_accvgpr_read_b32 v[vgprValuC+118], acc107 // copy acc to vreg[110]
v_accvgpr_read_b32 v[vgprValuC+119], acc111 // copy acc to vreg[111]
v_accvgpr_read_b32 v[vgprValuC+120], acc112 // copy acc to vreg[112]
v_accvgpr_read_b32 v[vgprValuC+121], acc116 // copy acc to vreg[113]
v_accvgpr_read_b32 v[vgprValuC+122], acc120 // copy acc to vreg[114]
v_accvgpr_read_b32 v[vgprValuC+123], acc124 // copy acc to vreg[115]
v_accvgpr_read_b32 v[vgprValuC+124], acc128 // copy acc to vreg[116]
v_accvgpr_read_b32 v[vgprValuC+125], acc132 // copy acc to vreg[117]
v_accvgpr_read_b32 v[vgprValuC+126], acc136 // copy acc to vreg[118]
v_accvgpr_read_b32 v[vgprValuC+127], acc113 // copy acc to vreg[119]
v_accvgpr_read_b32 v[vgprValuC+128], acc117 // copy acc to vreg[120]
v_accvgpr_read_b32 v[vgprValuC+129], acc121 // copy acc to vreg[121]
v_accvgpr_read_b32 v[vgprValuC+130], acc125 // copy acc to vreg[122]
v_accvgpr_read_b32 v[vgprValuC+131], acc129 // copy acc to vreg[123]
v_accvgpr_read_b32 v[vgprValuC+132], acc133 // copy acc to vreg[124]
v_accvgpr_read_b32 v[vgprValuC+133], acc137 // copy acc to vreg[125]
v_accvgpr_read_b32 v[vgprValuC+134], acc114 // copy acc to vreg[126]
v_accvgpr_read_b32 v[vgprValuC+135], acc118 // copy acc to vreg[127]
v_accvgpr_read_b32 v[vgprValuC+136], acc122 // copy acc to vreg[128]
v_accvgpr_read_b32 v[vgprValuC+137], acc126 // copy acc to vreg[129]
v_accvgpr_read_b32 v[vgprValuC+138], acc130 // copy acc to vreg[130]
v_accvgpr_read_b32 v[vgprValuC+139], acc134 // copy acc to vreg[131]
v_accvgpr_read_b32 v[vgprValuC+140], acc138 // copy acc to vreg[132]
v_accvgpr_read_b32 v[vgprValuC+141], acc115 // copy acc to vreg[133]
v_accvgpr_read_b32 v[vgprValuC+142], acc119 // copy acc to vreg[134]
v_accvgpr_read_b32 v[vgprValuC+143], acc123 // copy acc to vreg[135]
v_accvgpr_read_b32 v[vgprValuC+144], acc127 // copy acc to vreg[136]
v_accvgpr_read_b32 v[vgprValuC+145], acc131 // copy acc to vreg[137]
v_accvgpr_read_b32 v[vgprValuC+146], acc135 // copy acc to vreg[138]
v_accvgpr_read_b32 v[vgprValuC+147], acc139 // copy acc to vreg[139]
v_accvgpr_read_b32 v[vgprValuC+148], acc140 // copy acc to vreg[140]
v_accvgpr_read_b32 v[vgprValuC+149], acc144 // copy acc to vreg[141]
v_accvgpr_read_b32 v[vgprValuC+150], acc148 // copy acc to vreg[142]
v_accvgpr_read_b32 v[vgprValuC+151], acc152 // copy acc to vreg[143]
v_accvgpr_read_b32 v[vgprValuC+152], acc156 // copy acc to vreg[144]
v_accvgpr_read_b32 v[vgprValuC+153], acc160 // copy acc to vreg[145]
v_accvgpr_read_b32 v[vgprValuC+154], acc164 // copy acc to vreg[146]
v_accvgpr_read_b32 v[vgprValuC+155], acc141 // copy acc to vreg[147]
v_accvgpr_read_b32 v[vgprValuC+156], acc145 // copy acc to vreg[148]
v_accvgpr_read_b32 v[vgprValuC+157], acc149 // copy acc to vreg[149]
v_accvgpr_read_b32 v[vgprValuC+158], acc153 // copy acc to vreg[150]
v_accvgpr_read_b32 v[vgprValuC+159], acc157 // copy acc to vreg[151]
v_accvgpr_read_b32 v[vgprValuC+160], acc161 // copy acc to vreg[152]
v_accvgpr_read_b32 v[vgprValuC+161], acc165 // copy acc to vreg[153]
v_accvgpr_read_b32 v[vgprValuC+162], acc142 // copy acc to vreg[154]
v_accvgpr_read_b32 v[vgprValuC+163], acc146 // copy acc to vreg[155]
v_accvgpr_read_b32 v[vgprValuC+164], acc150 // copy acc to vreg[156]
v_accvgpr_read_b32 v[vgprValuC+165], acc154 // copy acc to vreg[157]
v_accvgpr_read_b32 v[vgprValuC+166], acc158 // copy acc to vreg[158]
v_accvgpr_read_b32 v[vgprValuC+167], acc162 // copy acc to vreg[159]
v_accvgpr_read_b32 v[vgprValuC+168], acc166 // copy acc to vreg[160]
v_accvgpr_read_b32 v[vgprValuC+169], acc143 // copy acc to vreg[161]
v_accvgpr_read_b32 v[vgprValuC+170], acc147 // copy acc to vreg[162]
v_accvgpr_read_b32 v[vgprValuC+171], acc151 // copy acc to vreg[163]
v_accvgpr_read_b32 v[vgprValuC+172], acc155 // copy acc to vreg[164]
v_accvgpr_read_b32 v[vgprValuC+173], acc159 // copy acc to vreg[165]
v_accvgpr_read_b32 v[vgprValuC+174], acc163 // copy acc to vreg[166]
v_accvgpr_read_b32 v[vgprValuC+175], acc167 // copy acc to vreg[167]
v_accvgpr_read_b32 v[vgprValuC+176], acc168 // copy acc to vreg[168]
v_accvgpr_read_b32 v[vgprValuC+177], acc172 // copy acc to vreg[169]
v_accvgpr_read_b32 v[vgprValuC+178], acc176 // copy acc to vreg[170]
v_accvgpr_read_b32 v[vgprValuC+179], acc180 // copy acc to vreg[171]
v_accvgpr_read_b32 v[vgprValuC+180], acc184 // copy acc to vreg[172]
v_accvgpr_read_b32 v[vgprValuC+181], acc188 // copy acc to vreg[173]
v_accvgpr_read_b32 v[vgprValuC+182], acc192 // copy acc to vreg[174]
v_accvgpr_read_b32 v[vgprValuC+183], acc169 // copy acc to vreg[175]
v_accvgpr_read_b32 v[vgprValuC+184], acc173 // copy acc to vreg[176]
v_accvgpr_read_b32 v[vgprValuC+185], acc177 // copy acc to vreg[177]
v_accvgpr_read_b32 v[vgprValuC+186], acc181 // copy acc to vreg[178]
v_accvgpr_read_b32 v[vgprValuC+187], acc185 // copy acc to vreg[179]
v_accvgpr_read_b32 v[vgprValuC+188], acc189 // copy acc to vreg[180]
v_accvgpr_read_b32 v[vgprValuC+189], acc193 // copy acc to vreg[181]
v_accvgpr_read_b32 v[vgprValuC+190], acc170 // copy acc to vreg[182]
v_accvgpr_read_b32 v[vgprValuC+191], acc174 // copy acc to vreg[183]
v_accvgpr_read_b32 v[vgprValuC+192], acc178 // copy acc to vreg[184]
v_accvgpr_read_b32 v[vgprValuC+193], acc182 // copy acc to vreg[185]
v_accvgpr_read_b32 v[vgprValuC+194], acc186 // copy acc to vreg[186]
v_accvgpr_read_b32 v[vgprValuC+195], acc190 // copy acc to vreg[187]
v_accvgpr_read_b32 v[vgprValuC+196], acc194 // copy acc to vreg[188]
v_accvgpr_read_b32 v[vgprValuC+197], acc171 // copy acc to vreg[189]
v_accvgpr_read_b32 v[vgprValuC+198], acc175 // copy acc to vreg[190]
v_accvgpr_read_b32 v[vgprValuC+199], acc179 // copy acc to vreg[191]
v_accvgpr_read_b32 v[vgprValuC+200], acc183 // copy acc to vreg[192]
v_accvgpr_read_b32 v[vgprValuC+201], acc187 // copy acc to vreg[193]
v_accvgpr_read_b32 v[vgprValuC+202], acc191 // copy acc to vreg[194]
v_accvgpr_read_b32 v[vgprValuC+203], acc195 // copy acc to vreg[195]
v_accvgpr_read_b32 v[vgprValuC+204], acc196 // copy acc to vreg[196]
v_accvgpr_read_b32 v[vgprValuC+205], acc200 // copy acc to vreg[197]
v_accvgpr_read_b32 v[vgprValuC+206], acc204 // copy acc to vreg[198]
v_accvgpr_read_b32 v[vgprValuC+207], acc208 // copy acc to vreg[199]
v_accvgpr_read_b32 v[vgprValuC+208], acc212 // copy acc to vreg[200]
v_accvgpr_read_b32 v[vgprValuC+209], acc216 // copy acc to vreg[201]
v_accvgpr_read_b32 v[vgprValuC+210], acc220 // copy acc to vreg[202]
v_accvgpr_read_b32 v[vgprValuC+211], acc197 // copy acc to vreg[203]
v_accvgpr_read_b32 v[vgprValuC+212], acc201 // copy acc to vreg[204]
v_accvgpr_read_b32 v[vgprValuC+213], acc205 // copy acc to vreg[205]
v_accvgpr_read_b32 v[vgprValuC+214], acc209 // copy acc to vreg[206]
v_accvgpr_read_b32 v[vgprValuC+215], acc213 // copy acc to vreg[207]
v_accvgpr_read_b32 v[vgprValuC+216], acc217 // copy acc to vreg[208]
v_accvgpr_read_b32 v[vgprValuC+217], acc221 // copy acc to vreg[209]
v_accvgpr_read_b32 v[vgprValuC+218], acc198 // copy acc to vreg[210]
v_accvgpr_read_b32 v[vgprValuC+219], acc202 // copy acc to vreg[211]
v_accvgpr_read_b32 v[vgprValuC+220], acc206 // copy acc to vreg[212]
v_accvgpr_read_b32 v[vgprValuC+221], acc210 // copy acc to vreg[213]
v_accvgpr_read_b32 v[vgprValuC+222], acc214 // copy acc to vreg[214]
v_accvgpr_read_b32 v[vgprValuC+223], acc218 // copy acc to vreg[215]
v_accvgpr_read_b32 v[vgprValuC+224], acc222 // copy acc to vreg[216]
v_accvgpr_read_b32 v[vgprValuC+225], acc199 // copy acc to vreg[217]
v_accvgpr_read_b32 v[vgprValuC+226], acc203 // copy acc to vreg[218]
v_accvgpr_read_b32 v[vgprValuC+227], acc207 // copy acc to vreg[219]
v_accvgpr_read_b32 v[vgprValuC+228], acc211 // copy acc to vreg[220]
v_accvgpr_read_b32 v[vgprValuC+229], acc215 // copy acc to vreg[221]
v_accvgpr_read_b32 v[vgprValuC+230], acc219 // copy acc to vreg[222]
v_accvgpr_read_b32 v[vgprValuC+231], acc223 // copy acc to vreg[223]
s_nop 1                                            // 2 wait states required before reading vgpr

/* rC *= alpha batchElements=[(0, 0, 0, 0), (0, 1, 0, 0), (0, 2, 0, 0), (0, 3, 0, 0), (0, 4, 0, 0), (0, 5, 0, 0), (0, 6, 0, 0), (0, 0, 1, 0), (0, 1, 1, 0), (0, 2, 1, 0), (0, 3, 1, 0), (0, 4, 1, 0), (0, 5, 1, 0), (0, 6, 1, 0), (0, 0, 2, 0), (0, 1, 2, 0), (0, 2, 2, 0), (0, 3, 2, 0), (0, 4, 2, 0), (0, 5, 2, 0), (0, 6, 2, 0), (0, 0, 3, 0), (0, 1, 3, 0), (0, 2, 3, 0), (0, 3, 3, 0), (0, 4, 3, 0), (0, 5, 3, 0), (0, 6, 3, 0), (1, 0, 0, 0), (1, 1, 0, 0), (1, 2, 0, 0), (1, 3, 0, 0), (1, 4, 0, 0), (1, 5, 0, 0), (1, 6, 0, 0), (1, 0, 1, 0), (1, 1, 1, 0), (1, 2, 1, 0), (1, 3, 1, 0), (1, 4, 1, 0), (1, 5, 1, 0), (1, 6, 1, 0), (1, 0, 2, 0), (1, 1, 2, 0), (1, 2, 2, 0), (1, 3, 2, 0), (1, 4, 2, 0), (1, 5, 2, 0), (1, 6, 2, 0), (1, 0, 3, 0), (1, 1, 3, 0), (1, 2, 3, 0), (1, 3, 3, 0), (1, 4, 3, 0), (1, 5, 3, 0), (1, 6, 3, 0), (2, 0, 0, 0), (2, 1, 0, 0), (2, 2, 0, 0), (2, 3, 0, 0), (2, 4, 0, 0), (2, 5, 0, 0), (2, 6, 0, 0), (2, 0, 1, 0), (2, 1, 1, 0), (2, 2, 1, 0), (2, 3, 1, 0), (2, 4, 1, 0), (2, 5, 1, 0), (2, 6, 1, 0), (2, 0, 2, 0), (2, 1, 2, 0), (2, 2, 2, 0), (2, 3, 2, 0), (2, 4, 2, 0), (2, 5, 2, 0), (2, 6, 2, 0), (2, 0, 3, 0), (2, 1, 3, 0), (2, 2, 3, 0), (2, 3, 3, 0), (2, 4, 3, 0), (2, 5, 3, 0), (2, 6, 3, 0), (3, 0, 0, 0), (3, 1, 0, 0), (3, 2, 0, 0), (3, 3, 0, 0), (3, 4, 0, 0), (3, 5, 0, 0), (3, 6, 0, 0), (3, 0, 1, 0), (3, 1, 1, 0), (3, 2, 1, 0), (3, 3, 1, 0), (3, 4, 1, 0), (3, 5, 1, 0), (3, 6, 1, 0), (3, 0, 2, 0), (3, 1, 2, 0), (3, 2, 2, 0), (3, 3, 2, 0), (3, 4, 2, 0), (3, 5, 2, 0), (3, 6, 2, 0), (3, 0, 3, 0), (3, 1, 3, 0), (3, 2, 3, 0), (3, 3, 3, 0), (3, 4, 3, 0), (3, 5, 3, 0), (3, 6, 3, 0), (4, 0, 0, 0), (4, 1, 0, 0), (4, 2, 0, 0), (4, 3, 0, 0), (4, 4, 0, 0), (4, 5, 0, 0), (4, 6, 0, 0), (4, 0, 1, 0), (4, 1, 1, 0), (4, 2, 1, 0), (4, 3, 1, 0), (4, 4, 1, 0), (4, 5, 1, 0), (4, 6, 1, 0), (4, 0, 2, 0), (4, 1, 2, 0), (4, 2, 2, 0), (4, 3, 2, 0), (4, 4, 2, 0), (4, 5, 2, 0), (4, 6, 2, 0), (4, 0, 3, 0), (4, 1, 3, 0), (4, 2, 3, 0), (4, 3, 3, 0), (4, 4, 3, 0), (4, 5, 3, 0), (4, 6, 3, 0), (5, 0, 0, 0), (5, 1, 0, 0), (5, 2, 0, 0), (5, 3, 0, 0), (5, 4, 0, 0), (5, 5, 0, 0), (5, 6, 0, 0), (5, 0, 1, 0), (5, 1, 1, 0), (5, 2, 1, 0), (5, 3, 1, 0), (5, 4, 1, 0), (5, 5, 1, 0), (5, 6, 1, 0), (5, 0, 2, 0), (5, 1, 2, 0), (5, 2, 2, 0), (5, 3, 2, 0), (5, 4, 2, 0), (5, 5, 2, 0), (5, 6, 2, 0), (5, 0, 3, 0), (5, 1, 3, 0), (5, 2, 3, 0), (5, 3, 3, 0), (5, 4, 3, 0), (5, 5, 3, 0), (5, 6, 3, 0), (6, 0, 0, 0), (6, 1, 0, 0), (6, 2, 0, 0), (6, 3, 0, 0), (6, 4, 0, 0), (6, 5, 0, 0), (6, 6, 0, 0), (6, 0, 1, 0), (6, 1, 1, 0), (6, 2, 1, 0), (6, 3, 1, 0), (6, 4, 1, 0), (6, 5, 1, 0), (6, 6, 1, 0), (6, 0, 2, 0), (6, 1, 2, 0), (6, 2, 2, 0), (6, 3, 2, 0), (6, 4, 2, 0), (6, 5, 2, 0), (6, 6, 2, 0), (6, 0, 3, 0), (6, 1, 3, 0), (6, 2, 3, 0), (6, 3, 3, 0), (6, 4, 3, 0), (6, 5, 3, 0), (6, 6, 3, 0), (7, 0, 0, 0), (7, 1, 0, 0), (7, 2, 0, 0), (7, 3, 0, 0), (7, 4, 0, 0), (7, 5, 0, 0), (7, 6, 0, 0), (7, 0, 1, 0), (7, 1, 1, 0), (7, 2, 1, 0), (7, 3, 1, 0), (7, 4, 1, 0), (7, 5, 1, 0), (7, 6, 1, 0), (7, 0, 2, 0), (7, 1, 2, 0), (7, 2, 2, 0), (7, 3, 2, 0), (7, 4, 2, 0), (7, 5, 2, 0), (7, 6, 2, 0), (7, 0, 3, 0), (7, 1, 3, 0), (7, 2, 3, 0), (7, 3, 3, 0), (7, 4, 3, 0), (7, 5, 3, 0), (7, 6, 3, 0)] */
v_mul_f32 v[vgprValuC+8], s[sgprAlpha], v[vgprValuC+8] // *= alpha
v_mul_f32 v[vgprValuC+9], s[sgprAlpha], v[vgprValuC+9] // *= alpha
	;; [unrolled: 1-line block ×224, first 2 shown]

/* apply mask, calc new C and issue writes */
v_cvt_f16_f32 v[vgprValuC+8], v[vgprValuC+8]       // convert C to fp16
_buffer_store_b16 v8, v6, s[sgprSrdD:sgprSrdD+3], 0, offen, offset:0,  sc0 sc1 // store D
v_cvt_f16_f32 v[vgprValuC+9], v[vgprValuC+9]       // convert C to fp16
_buffer_store_b16 v9, v6, s[sgprSrdD:sgprSrdD+3], 0, offen, offset:64,  sc0 sc1 // store D
v_cvt_f16_f32 v[vgprValuC+10], v[vgprValuC+10]     // convert C to fp16
_buffer_store_b16 v10, v6, s[sgprSrdD:sgprSrdD+3], 0, offen, offset:128,  sc0 sc1 // store D
v_cvt_f16_f32 v[vgprValuC+11], v[vgprValuC+11]     // convert C to fp16
_buffer_store_b16 v11, v6, s[sgprSrdD:sgprSrdD+3], 0, offen, offset:192,  sc0 sc1 // store D
v_cvt_f16_f32 v[vgprValuC+12], v[vgprValuC+12]     // convert C to fp16
_buffer_store_b16 v12, v6, s[sgprSrdD:sgprSrdD+3], 0, offen, offset:256,  sc0 sc1 // store D
v_cvt_f16_f32 v[vgprValuC+13], v[vgprValuC+13]     // convert C to fp16
_buffer_store_b16 v13, v6, s[sgprSrdD:sgprSrdD+3], 0, offen, offset:320,  sc0 sc1 // store D
v_cvt_f16_f32 v[vgprValuC+14], v[vgprValuC+14]     // convert C to fp16
_buffer_store_b16 v14, v6, s[sgprSrdD:sgprSrdD+3], 0, offen, offset:384,  sc0 sc1 // store D
v_cvt_f16_f32 v[vgprValuC+15], v[vgprValuC+15]     // convert C to fp16
s_lshl_b32  s54, s[sgprStrideD1J], 1               // incToNextRow: Scale by BPE
s_add_u32  s[sgprSrdD+0], s[sgprSrdD+0], s54       // incToNextRow: gra SRD += inc(lower)
s_addc_u32  s[sgprSrdD+1], s[sgprSrdD+1], 0        // incToNextRow: gra SRD += inc(upper)
_buffer_store_b16 v15, v6, s[sgprSrdD:sgprSrdD+3], 0, offen, offset:0,  sc0 sc1 // store D
v_cvt_f16_f32 v[vgprValuC+16], v[vgprValuC+16]     // convert C to fp16
_buffer_store_b16 v16, v6, s[sgprSrdD:sgprSrdD+3], 0, offen, offset:64,  sc0 sc1 // store D
v_cvt_f16_f32 v[vgprValuC+17], v[vgprValuC+17]     // convert C to fp16
_buffer_store_b16 v17, v6, s[sgprSrdD:sgprSrdD+3], 0, offen, offset:128,  sc0 sc1 // store D
v_cvt_f16_f32 v[vgprValuC+18], v[vgprValuC+18]     // convert C to fp16
_buffer_store_b16 v18, v6, s[sgprSrdD:sgprSrdD+3], 0, offen, offset:192,  sc0 sc1 // store D
v_cvt_f16_f32 v[vgprValuC+19], v[vgprValuC+19]     // convert C to fp16
_buffer_store_b16 v19, v6, s[sgprSrdD:sgprSrdD+3], 0, offen, offset:256,  sc0 sc1 // store D
v_cvt_f16_f32 v[vgprValuC+20], v[vgprValuC+20]     // convert C to fp16
_buffer_store_b16 v20, v6, s[sgprSrdD:sgprSrdD+3], 0, offen, offset:320,  sc0 sc1 // store D
v_cvt_f16_f32 v[vgprValuC+21], v[vgprValuC+21]     // convert C to fp16
_buffer_store_b16 v21, v6, s[sgprSrdD:sgprSrdD+3], 0, offen, offset:384,  sc0 sc1 // store D
v_cvt_f16_f32 v[vgprValuC+22], v[vgprValuC+22]     // convert C to fp16
s_lshl_b32  s54, s[sgprStrideD1J], 1               // incToNextRow: Scale by BPE
s_add_u32  s[sgprSrdD+0], s[sgprSrdD+0], s54       // incToNextRow: gra SRD += inc(lower)
s_addc_u32  s[sgprSrdD+1], s[sgprSrdD+1], 0        // incToNextRow: gra SRD += inc(upper)
_buffer_store_b16 v22, v6, s[sgprSrdD:sgprSrdD+3], 0, offen, offset:0,  sc0 sc1 // store D
v_cvt_f16_f32 v[vgprValuC+23], v[vgprValuC+23]     // convert C to fp16
	;; [unrolled: 17-line block ×3, first 2 shown]
_buffer_store_b16 v30, v6, s[sgprSrdD:sgprSrdD+3], 0, offen, offset:64,  sc0 sc1 // store D
v_cvt_f16_f32 v[vgprValuC+31], v[vgprValuC+31]     // convert C to fp16
_buffer_store_b16 v31, v6, s[sgprSrdD:sgprSrdD+3], 0, offen, offset:128,  sc0 sc1 // store D
v_cvt_f16_f32 v[vgprValuC+32], v[vgprValuC+32]     // convert C to fp16
	;; [unrolled: 2-line block ×6, first 2 shown]
s_mul_i32 s54, s[sgprStrideD1J], 58                // scale StrideD *= numRows(29) * bpe
s_add_u32  s[sgprSrdD+0], s[sgprSrdD+0], s54       // incToNextRow: gra SRD += inc(lower)
s_addc_u32  s[sgprSrdD+1], s[sgprSrdD+1], 0        // incToNextRow: gra SRD += inc(upper)
_buffer_store_b16 v36, v6, s[sgprSrdD:sgprSrdD+3], 0, offen, offset:0,  sc0 sc1 // store D
v_cvt_f16_f32 v[vgprValuC+37], v[vgprValuC+37]     // convert C to fp16
_buffer_store_b16 v37, v6, s[sgprSrdD:sgprSrdD+3], 0, offen, offset:64,  sc0 sc1 // store D
v_cvt_f16_f32 v[vgprValuC+38], v[vgprValuC+38]     // convert C to fp16
_buffer_store_b16 v38, v6, s[sgprSrdD:sgprSrdD+3], 0, offen, offset:128,  sc0 sc1 // store D
v_cvt_f16_f32 v[vgprValuC+39], v[vgprValuC+39]     // convert C to fp16
_buffer_store_b16 v39, v6, s[sgprSrdD:sgprSrdD+3], 0, offen, offset:192,  sc0 sc1 // store D
v_cvt_f16_f32 v[vgprValuC+40], v[vgprValuC+40]     // convert C to fp16
_buffer_store_b16 v40, v6, s[sgprSrdD:sgprSrdD+3], 0, offen, offset:256,  sc0 sc1 // store D
v_cvt_f16_f32 v[vgprValuC+41], v[vgprValuC+41]     // convert C to fp16
_buffer_store_b16 v41, v6, s[sgprSrdD:sgprSrdD+3], 0, offen, offset:320,  sc0 sc1 // store D
v_cvt_f16_f32 v[vgprValuC+42], v[vgprValuC+42]     // convert C to fp16
_buffer_store_b16 v42, v6, s[sgprSrdD:sgprSrdD+3], 0, offen, offset:384,  sc0 sc1 // store D
v_cvt_f16_f32 v[vgprValuC+43], v[vgprValuC+43]     // convert C to fp16
s_lshl_b32  s54, s[sgprStrideD1J], 1               // incToNextRow: Scale by BPE
s_add_u32  s[sgprSrdD+0], s[sgprSrdD+0], s54       // incToNextRow: gra SRD += inc(lower)
s_addc_u32  s[sgprSrdD+1], s[sgprSrdD+1], 0        // incToNextRow: gra SRD += inc(upper)
_buffer_store_b16 v43, v6, s[sgprSrdD:sgprSrdD+3], 0, offen, offset:0,  sc0 sc1 // store D
v_cvt_f16_f32 v[vgprValuC+44], v[vgprValuC+44]     // convert C to fp16
_buffer_store_b16 v44, v6, s[sgprSrdD:sgprSrdD+3], 0, offen, offset:64,  sc0 sc1 // store D
v_cvt_f16_f32 v[vgprValuC+45], v[vgprValuC+45]     // convert C to fp16
_buffer_store_b16 v45, v6, s[sgprSrdD:sgprSrdD+3], 0, offen, offset:128,  sc0 sc1 // store D
v_cvt_f16_f32 v[vgprValuC+46], v[vgprValuC+46]     // convert C to fp16
_buffer_store_b16 v46, v6, s[sgprSrdD:sgprSrdD+3], 0, offen, offset:192,  sc0 sc1 // store D
v_cvt_f16_f32 v[vgprValuC+47], v[vgprValuC+47]     // convert C to fp16
_buffer_store_b16 v47, v6, s[sgprSrdD:sgprSrdD+3], 0, offen, offset:256,  sc0 sc1 // store D
v_cvt_f16_f32 v[vgprValuC+48], v[vgprValuC+48]     // convert C to fp16
_buffer_store_b16 v48, v6, s[sgprSrdD:sgprSrdD+3], 0, offen, offset:320,  sc0 sc1 // store D
v_cvt_f16_f32 v[vgprValuC+49], v[vgprValuC+49]     // convert C to fp16
_buffer_store_b16 v49, v6, s[sgprSrdD:sgprSrdD+3], 0, offen, offset:384,  sc0 sc1 // store D
v_cvt_f16_f32 v[vgprValuC+50], v[vgprValuC+50]     // convert C to fp16
s_lshl_b32  s54, s[sgprStrideD1J], 1               // incToNextRow: Scale by BPE
	;; [unrolled: 17-line block ×3, first 2 shown]
s_add_u32  s[sgprSrdD+0], s[sgprSrdD+0], s54       // incToNextRow: gra SRD += inc(lower)
s_addc_u32  s[sgprSrdD+1], s[sgprSrdD+1], 0        // incToNextRow: gra SRD += inc(upper)
_buffer_store_b16 v57, v6, s[sgprSrdD:sgprSrdD+3], 0, offen, offset:0,  sc0 sc1 // store D
v_cvt_f16_f32 v[vgprValuC+58], v[vgprValuC+58]     // convert C to fp16
_buffer_store_b16 v58, v6, s[sgprSrdD:sgprSrdD+3], 0, offen, offset:64,  sc0 sc1 // store D
v_cvt_f16_f32 v[vgprValuC+59], v[vgprValuC+59]     // convert C to fp16
	;; [unrolled: 2-line block ×7, first 2 shown]
s_mul_i32 s54, s[sgprStrideD1J], 58                // scale StrideD *= numRows(29) * bpe
s_add_u32  s[sgprSrdD+0], s[sgprSrdD+0], s54       // incToNextRow: gra SRD += inc(lower)
s_addc_u32  s[sgprSrdD+1], s[sgprSrdD+1], 0        // incToNextRow: gra SRD += inc(upper)
_buffer_store_b16 v64, v6, s[sgprSrdD:sgprSrdD+3], 0, offen, offset:0,  sc0 sc1 // store D
v_cvt_f16_f32 v[vgprValuC+65], v[vgprValuC+65]     // convert C to fp16
_buffer_store_b16 v65, v6, s[sgprSrdD:sgprSrdD+3], 0, offen, offset:64,  sc0 sc1 // store D
v_cvt_f16_f32 v[vgprValuC+66], v[vgprValuC+66]     // convert C to fp16
_buffer_store_b16 v66, v6, s[sgprSrdD:sgprSrdD+3], 0, offen, offset:128,  sc0 sc1 // store D
v_cvt_f16_f32 v[vgprValuC+67], v[vgprValuC+67]     // convert C to fp16
_buffer_store_b16 v67, v6, s[sgprSrdD:sgprSrdD+3], 0, offen, offset:192,  sc0 sc1 // store D
v_cvt_f16_f32 v[vgprValuC+68], v[vgprValuC+68]     // convert C to fp16
_buffer_store_b16 v68, v6, s[sgprSrdD:sgprSrdD+3], 0, offen, offset:256,  sc0 sc1 // store D
v_cvt_f16_f32 v[vgprValuC+69], v[vgprValuC+69]     // convert C to fp16
_buffer_store_b16 v69, v6, s[sgprSrdD:sgprSrdD+3], 0, offen, offset:320,  sc0 sc1 // store D
v_cvt_f16_f32 v[vgprValuC+70], v[vgprValuC+70]     // convert C to fp16
_buffer_store_b16 v70, v6, s[sgprSrdD:sgprSrdD+3], 0, offen, offset:384,  sc0 sc1 // store D
v_cvt_f16_f32 v[vgprValuC+71], v[vgprValuC+71]     // convert C to fp16
s_lshl_b32  s54, s[sgprStrideD1J], 1               // incToNextRow: Scale by BPE
s_add_u32  s[sgprSrdD+0], s[sgprSrdD+0], s54       // incToNextRow: gra SRD += inc(lower)
s_addc_u32  s[sgprSrdD+1], s[sgprSrdD+1], 0        // incToNextRow: gra SRD += inc(upper)
_buffer_store_b16 v71, v6, s[sgprSrdD:sgprSrdD+3], 0, offen, offset:0,  sc0 sc1 // store D
v_cvt_f16_f32 v[vgprValuC+72], v[vgprValuC+72]     // convert C to fp16
_buffer_store_b16 v72, v6, s[sgprSrdD:sgprSrdD+3], 0, offen, offset:64,  sc0 sc1 // store D
v_cvt_f16_f32 v[vgprValuC+73], v[vgprValuC+73]     // convert C to fp16
_buffer_store_b16 v73, v6, s[sgprSrdD:sgprSrdD+3], 0, offen, offset:128,  sc0 sc1 // store D
v_cvt_f16_f32 v[vgprValuC+74], v[vgprValuC+74]     // convert C to fp16
_buffer_store_b16 v74, v6, s[sgprSrdD:sgprSrdD+3], 0, offen, offset:192,  sc0 sc1 // store D
v_cvt_f16_f32 v[vgprValuC+75], v[vgprValuC+75]     // convert C to fp16
_buffer_store_b16 v75, v6, s[sgprSrdD:sgprSrdD+3], 0, offen, offset:256,  sc0 sc1 // store D
v_cvt_f16_f32 v[vgprValuC+76], v[vgprValuC+76]     // convert C to fp16
_buffer_store_b16 v76, v6, s[sgprSrdD:sgprSrdD+3], 0, offen, offset:320,  sc0 sc1 // store D
v_cvt_f16_f32 v[vgprValuC+77], v[vgprValuC+77]     // convert C to fp16
_buffer_store_b16 v77, v6, s[sgprSrdD:sgprSrdD+3], 0, offen, offset:384,  sc0 sc1 // store D
v_cvt_f16_f32 v[vgprValuC+78], v[vgprValuC+78]     // convert C to fp16
s_lshl_b32  s54, s[sgprStrideD1J], 1               // incToNextRow: Scale by BPE
	;; [unrolled: 17-line block ×3, first 2 shown]
s_add_u32  s[sgprSrdD+0], s[sgprSrdD+0], s54       // incToNextRow: gra SRD += inc(lower)
s_addc_u32  s[sgprSrdD+1], s[sgprSrdD+1], 0        // incToNextRow: gra SRD += inc(upper)
_buffer_store_b16 v85, v6, s[sgprSrdD:sgprSrdD+3], 0, offen, offset:0,  sc0 sc1 // store D
v_cvt_f16_f32 v[vgprValuC+86], v[vgprValuC+86]     // convert C to fp16
_buffer_store_b16 v86, v6, s[sgprSrdD:sgprSrdD+3], 0, offen, offset:64,  sc0 sc1 // store D
v_cvt_f16_f32 v[vgprValuC+87], v[vgprValuC+87]     // convert C to fp16
	;; [unrolled: 2-line block ×7, first 2 shown]
s_mul_i32 s54, s[sgprStrideD1J], 58                // scale StrideD *= numRows(29) * bpe
s_add_u32  s[sgprSrdD+0], s[sgprSrdD+0], s54       // incToNextRow: gra SRD += inc(lower)
s_addc_u32  s[sgprSrdD+1], s[sgprSrdD+1], 0        // incToNextRow: gra SRD += inc(upper)
_buffer_store_b16 v92, v6, s[sgprSrdD:sgprSrdD+3], 0, offen, offset:0,  sc0 sc1 // store D
v_cvt_f16_f32 v[vgprValuC+93], v[vgprValuC+93]     // convert C to fp16
_buffer_store_b16 v93, v6, s[sgprSrdD:sgprSrdD+3], 0, offen, offset:64,  sc0 sc1 // store D
v_cvt_f16_f32 v[vgprValuC+94], v[vgprValuC+94]     // convert C to fp16
	;; [unrolled: 2-line block ×7, first 2 shown]
s_lshl_b32  s54, s[sgprStrideD1J], 1               // incToNextRow: Scale by BPE
s_add_u32  s[sgprSrdD+0], s[sgprSrdD+0], s54       // incToNextRow: gra SRD += inc(lower)
s_addc_u32  s[sgprSrdD+1], s[sgprSrdD+1], 0        // incToNextRow: gra SRD += inc(upper)
_buffer_store_b16 v99, v6, s[sgprSrdD:sgprSrdD+3], 0, offen, offset:0,  sc0 sc1 // store D
v_cvt_f16_f32 v[vgprValuC+100], v[vgprValuC+100]   // convert C to fp16
_buffer_store_b16 v100, v6, s[sgprSrdD:sgprSrdD+3], 0, offen, offset:64,  sc0 sc1 // store D
v_cvt_f16_f32 v[vgprValuC+101], v[vgprValuC+101]   // convert C to fp16
_buffer_store_b16 v101, v6, s[sgprSrdD:sgprSrdD+3], 0, offen, offset:128,  sc0 sc1 // store D
v_cvt_f16_f32 v[vgprValuC+102], v[vgprValuC+102]   // convert C to fp16
_buffer_store_b16 v102, v6, s[sgprSrdD:sgprSrdD+3], 0, offen, offset:192,  sc0 sc1 // store D
v_cvt_f16_f32 v[vgprValuC+103], v[vgprValuC+103]   // convert C to fp16
_buffer_store_b16 v103, v6, s[sgprSrdD:sgprSrdD+3], 0, offen, offset:256,  sc0 sc1 // store D
v_cvt_f16_f32 v[vgprValuC+104], v[vgprValuC+104]   // convert C to fp16
_buffer_store_b16 v104, v6, s[sgprSrdD:sgprSrdD+3], 0, offen, offset:320,  sc0 sc1 // store D
v_cvt_f16_f32 v[vgprValuC+105], v[vgprValuC+105]   // convert C to fp16
_buffer_store_b16 v105, v6, s[sgprSrdD:sgprSrdD+3], 0, offen, offset:384,  sc0 sc1 // store D
v_cvt_f16_f32 v[vgprValuC+106], v[vgprValuC+106]   // convert C to fp16
s_lshl_b32  s54, s[sgprStrideD1J], 1               // incToNextRow: Scale by BPE
s_add_u32  s[sgprSrdD+0], s[sgprSrdD+0], s54       // incToNextRow: gra SRD += inc(lower)
s_addc_u32  s[sgprSrdD+1], s[sgprSrdD+1], 0        // incToNextRow: gra SRD += inc(upper)
_buffer_store_b16 v106, v6, s[sgprSrdD:sgprSrdD+3], 0, offen, offset:0,  sc0 sc1 // store D
v_cvt_f16_f32 v[vgprValuC+107], v[vgprValuC+107]   // convert C to fp16
_buffer_store_b16 v107, v6, s[sgprSrdD:sgprSrdD+3], 0, offen, offset:64,  sc0 sc1 // store D
v_cvt_f16_f32 v[vgprValuC+108], v[vgprValuC+108]   // convert C to fp16
_buffer_store_b16 v108, v6, s[sgprSrdD:sgprSrdD+3], 0, offen, offset:128,  sc0 sc1 // store D
v_cvt_f16_f32 v[vgprValuC+109], v[vgprValuC+109]   // convert C to fp16
_buffer_store_b16 v109, v6, s[sgprSrdD:sgprSrdD+3], 0, offen, offset:192,  sc0 sc1 // store D
v_cvt_f16_f32 v[vgprValuC+110], v[vgprValuC+110]   // convert C to fp16
_buffer_store_b16 v110, v6, s[sgprSrdD:sgprSrdD+3], 0, offen, offset:256,  sc0 sc1 // store D
v_cvt_f16_f32 v[vgprValuC+111], v[vgprValuC+111]   // convert C to fp16
_buffer_store_b16 v111, v6, s[sgprSrdD:sgprSrdD+3], 0, offen, offset:320,  sc0 sc1 // store D
v_cvt_f16_f32 v[vgprValuC+112], v[vgprValuC+112]   // convert C to fp16
_buffer_store_b16 v112, v6, s[sgprSrdD:sgprSrdD+3], 0, offen, offset:384,  sc0 sc1 // store D
v_cvt_f16_f32 v[vgprValuC+113], v[vgprValuC+113]   // convert C to fp16
	;; [unrolled: 17-line block ×3, first 2 shown]
s_mul_i32 s54, s[sgprStrideD1J], 58                // scale StrideD *= numRows(29) * bpe
s_add_u32  s[sgprSrdD+0], s[sgprSrdD+0], s54       // incToNextRow: gra SRD += inc(lower)
s_addc_u32  s[sgprSrdD+1], s[sgprSrdD+1], 0        // incToNextRow: gra SRD += inc(upper)
_buffer_store_b16 v120, v6, s[sgprSrdD:sgprSrdD+3], 0, offen, offset:0,  sc0 sc1 // store D
v_cvt_f16_f32 v[vgprValuC+121], v[vgprValuC+121]   // convert C to fp16
_buffer_store_b16 v121, v6, s[sgprSrdD:sgprSrdD+3], 0, offen, offset:64,  sc0 sc1 // store D
v_cvt_f16_f32 v[vgprValuC+122], v[vgprValuC+122]   // convert C to fp16
_buffer_store_b16 v122, v6, s[sgprSrdD:sgprSrdD+3], 0, offen, offset:128,  sc0 sc1 // store D
v_cvt_f16_f32 v[vgprValuC+123], v[vgprValuC+123]   // convert C to fp16
_buffer_store_b16 v123, v6, s[sgprSrdD:sgprSrdD+3], 0, offen, offset:192,  sc0 sc1 // store D
v_cvt_f16_f32 v[vgprValuC+124], v[vgprValuC+124]   // convert C to fp16
_buffer_store_b16 v124, v6, s[sgprSrdD:sgprSrdD+3], 0, offen, offset:256,  sc0 sc1 // store D
v_cvt_f16_f32 v[vgprValuC+125], v[vgprValuC+125]   // convert C to fp16
_buffer_store_b16 v125, v6, s[sgprSrdD:sgprSrdD+3], 0, offen, offset:320,  sc0 sc1 // store D
v_cvt_f16_f32 v[vgprValuC+126], v[vgprValuC+126]   // convert C to fp16
_buffer_store_b16 v126, v6, s[sgprSrdD:sgprSrdD+3], 0, offen, offset:384,  sc0 sc1 // store D
v_cvt_f16_f32 v[vgprValuC+127], v[vgprValuC+127]   // convert C to fp16
s_lshl_b32  s54, s[sgprStrideD1J], 1               // incToNextRow: Scale by BPE
s_add_u32  s[sgprSrdD+0], s[sgprSrdD+0], s54       // incToNextRow: gra SRD += inc(lower)
s_addc_u32  s[sgprSrdD+1], s[sgprSrdD+1], 0        // incToNextRow: gra SRD += inc(upper)
_buffer_store_b16 v127, v6, s[sgprSrdD:sgprSrdD+3], 0, offen, offset:0,  sc0 sc1 // store D
v_cvt_f16_f32 v[vgprValuC+128], v[vgprValuC+128]   // convert C to fp16
_buffer_store_b16 v128, v6, s[sgprSrdD:sgprSrdD+3], 0, offen, offset:64,  sc0 sc1 // store D
v_cvt_f16_f32 v[vgprValuC+129], v[vgprValuC+129]   // convert C to fp16
_buffer_store_b16 v129, v6, s[sgprSrdD:sgprSrdD+3], 0, offen, offset:128,  sc0 sc1 // store D
v_cvt_f16_f32 v[vgprValuC+130], v[vgprValuC+130]   // convert C to fp16
_buffer_store_b16 v130, v6, s[sgprSrdD:sgprSrdD+3], 0, offen, offset:192,  sc0 sc1 // store D
v_cvt_f16_f32 v[vgprValuC+131], v[vgprValuC+131]   // convert C to fp16
_buffer_store_b16 v131, v6, s[sgprSrdD:sgprSrdD+3], 0, offen, offset:256,  sc0 sc1 // store D
v_cvt_f16_f32 v[vgprValuC+132], v[vgprValuC+132]   // convert C to fp16
_buffer_store_b16 v132, v6, s[sgprSrdD:sgprSrdD+3], 0, offen, offset:320,  sc0 sc1 // store D
v_cvt_f16_f32 v[vgprValuC+133], v[vgprValuC+133]   // convert C to fp16
_buffer_store_b16 v133, v6, s[sgprSrdD:sgprSrdD+3], 0, offen, offset:384,  sc0 sc1 // store D
v_cvt_f16_f32 v[vgprValuC+134], v[vgprValuC+134]   // convert C to fp16
s_lshl_b32  s54, s[sgprStrideD1J], 1               // incToNextRow: Scale by BPE
	;; [unrolled: 17-line block ×3, first 2 shown]
s_add_u32  s[sgprSrdD+0], s[sgprSrdD+0], s54       // incToNextRow: gra SRD += inc(lower)
s_addc_u32  s[sgprSrdD+1], s[sgprSrdD+1], 0        // incToNextRow: gra SRD += inc(upper)
_buffer_store_b16 v141, v6, s[sgprSrdD:sgprSrdD+3], 0, offen, offset:0,  sc0 sc1 // store D
v_cvt_f16_f32 v[vgprValuC+142], v[vgprValuC+142]   // convert C to fp16
_buffer_store_b16 v142, v6, s[sgprSrdD:sgprSrdD+3], 0, offen, offset:64,  sc0 sc1 // store D
v_cvt_f16_f32 v[vgprValuC+143], v[vgprValuC+143]   // convert C to fp16
	;; [unrolled: 2-line block ×7, first 2 shown]
s_mul_i32 s54, s[sgprStrideD1J], 58                // scale StrideD *= numRows(29) * bpe
s_add_u32  s[sgprSrdD+0], s[sgprSrdD+0], s54       // incToNextRow: gra SRD += inc(lower)
s_addc_u32  s[sgprSrdD+1], s[sgprSrdD+1], 0        // incToNextRow: gra SRD += inc(upper)
_buffer_store_b16 v148, v6, s[sgprSrdD:sgprSrdD+3], 0, offen, offset:0,  sc0 sc1 // store D
v_cvt_f16_f32 v[vgprValuC+149], v[vgprValuC+149]   // convert C to fp16
_buffer_store_b16 v149, v6, s[sgprSrdD:sgprSrdD+3], 0, offen, offset:64,  sc0 sc1 // store D
v_cvt_f16_f32 v[vgprValuC+150], v[vgprValuC+150]   // convert C to fp16
_buffer_store_b16 v150, v6, s[sgprSrdD:sgprSrdD+3], 0, offen, offset:128,  sc0 sc1 // store D
v_cvt_f16_f32 v[vgprValuC+151], v[vgprValuC+151]   // convert C to fp16
_buffer_store_b16 v151, v6, s[sgprSrdD:sgprSrdD+3], 0, offen, offset:192,  sc0 sc1 // store D
v_cvt_f16_f32 v[vgprValuC+152], v[vgprValuC+152]   // convert C to fp16
_buffer_store_b16 v152, v6, s[sgprSrdD:sgprSrdD+3], 0, offen, offset:256,  sc0 sc1 // store D
v_cvt_f16_f32 v[vgprValuC+153], v[vgprValuC+153]   // convert C to fp16
_buffer_store_b16 v153, v6, s[sgprSrdD:sgprSrdD+3], 0, offen, offset:320,  sc0 sc1 // store D
v_cvt_f16_f32 v[vgprValuC+154], v[vgprValuC+154]   // convert C to fp16
_buffer_store_b16 v154, v6, s[sgprSrdD:sgprSrdD+3], 0, offen, offset:384,  sc0 sc1 // store D
v_cvt_f16_f32 v[vgprValuC+155], v[vgprValuC+155]   // convert C to fp16
s_lshl_b32  s54, s[sgprStrideD1J], 1               // incToNextRow: Scale by BPE
s_add_u32  s[sgprSrdD+0], s[sgprSrdD+0], s54       // incToNextRow: gra SRD += inc(lower)
s_addc_u32  s[sgprSrdD+1], s[sgprSrdD+1], 0        // incToNextRow: gra SRD += inc(upper)
_buffer_store_b16 v155, v6, s[sgprSrdD:sgprSrdD+3], 0, offen, offset:0,  sc0 sc1 // store D
v_cvt_f16_f32 v[vgprValuC+156], v[vgprValuC+156]   // convert C to fp16
_buffer_store_b16 v156, v6, s[sgprSrdD:sgprSrdD+3], 0, offen, offset:64,  sc0 sc1 // store D
v_cvt_f16_f32 v[vgprValuC+157], v[vgprValuC+157]   // convert C to fp16
_buffer_store_b16 v157, v6, s[sgprSrdD:sgprSrdD+3], 0, offen, offset:128,  sc0 sc1 // store D
v_cvt_f16_f32 v[vgprValuC+158], v[vgprValuC+158]   // convert C to fp16
_buffer_store_b16 v158, v6, s[sgprSrdD:sgprSrdD+3], 0, offen, offset:192,  sc0 sc1 // store D
v_cvt_f16_f32 v[vgprValuC+159], v[vgprValuC+159]   // convert C to fp16
_buffer_store_b16 v159, v6, s[sgprSrdD:sgprSrdD+3], 0, offen, offset:256,  sc0 sc1 // store D
v_cvt_f16_f32 v[vgprValuC+160], v[vgprValuC+160]   // convert C to fp16
_buffer_store_b16 v160, v6, s[sgprSrdD:sgprSrdD+3], 0, offen, offset:320,  sc0 sc1 // store D
v_cvt_f16_f32 v[vgprValuC+161], v[vgprValuC+161]   // convert C to fp16
_buffer_store_b16 v161, v6, s[sgprSrdD:sgprSrdD+3], 0, offen, offset:384,  sc0 sc1 // store D
v_cvt_f16_f32 v[vgprValuC+162], v[vgprValuC+162]   // convert C to fp16
s_lshl_b32  s54, s[sgprStrideD1J], 1               // incToNextRow: Scale by BPE
	;; [unrolled: 17-line block ×3, first 2 shown]
s_add_u32  s[sgprSrdD+0], s[sgprSrdD+0], s54       // incToNextRow: gra SRD += inc(lower)
s_addc_u32  s[sgprSrdD+1], s[sgprSrdD+1], 0        // incToNextRow: gra SRD += inc(upper)
_buffer_store_b16 v169, v6, s[sgprSrdD:sgprSrdD+3], 0, offen, offset:0,  sc0 sc1 // store D
v_cvt_f16_f32 v[vgprValuC+170], v[vgprValuC+170]   // convert C to fp16
_buffer_store_b16 v170, v6, s[sgprSrdD:sgprSrdD+3], 0, offen, offset:64,  sc0 sc1 // store D
v_cvt_f16_f32 v[vgprValuC+171], v[vgprValuC+171]   // convert C to fp16
	;; [unrolled: 2-line block ×7, first 2 shown]
s_mul_i32 s54, s[sgprStrideD1J], 58                // scale StrideD *= numRows(29) * bpe
s_add_u32  s[sgprSrdD+0], s[sgprSrdD+0], s54       // incToNextRow: gra SRD += inc(lower)
s_addc_u32  s[sgprSrdD+1], s[sgprSrdD+1], 0        // incToNextRow: gra SRD += inc(upper)
_buffer_store_b16 v176, v6, s[sgprSrdD:sgprSrdD+3], 0, offen, offset:0,  sc0 sc1 // store D
v_cvt_f16_f32 v[vgprValuC+177], v[vgprValuC+177]   // convert C to fp16
_buffer_store_b16 v177, v6, s[sgprSrdD:sgprSrdD+3], 0, offen, offset:64,  sc0 sc1 // store D
v_cvt_f16_f32 v[vgprValuC+178], v[vgprValuC+178]   // convert C to fp16
_buffer_store_b16 v178, v6, s[sgprSrdD:sgprSrdD+3], 0, offen, offset:128,  sc0 sc1 // store D
v_cvt_f16_f32 v[vgprValuC+179], v[vgprValuC+179]   // convert C to fp16
_buffer_store_b16 v179, v6, s[sgprSrdD:sgprSrdD+3], 0, offen, offset:192,  sc0 sc1 // store D
v_cvt_f16_f32 v[vgprValuC+180], v[vgprValuC+180]   // convert C to fp16
_buffer_store_b16 v180, v6, s[sgprSrdD:sgprSrdD+3], 0, offen, offset:256,  sc0 sc1 // store D
v_cvt_f16_f32 v[vgprValuC+181], v[vgprValuC+181]   // convert C to fp16
_buffer_store_b16 v181, v6, s[sgprSrdD:sgprSrdD+3], 0, offen, offset:320,  sc0 sc1 // store D
v_cvt_f16_f32 v[vgprValuC+182], v[vgprValuC+182]   // convert C to fp16
_buffer_store_b16 v182, v6, s[sgprSrdD:sgprSrdD+3], 0, offen, offset:384,  sc0 sc1 // store D
v_cvt_f16_f32 v[vgprValuC+183], v[vgprValuC+183]   // convert C to fp16
s_lshl_b32  s54, s[sgprStrideD1J], 1               // incToNextRow: Scale by BPE
s_add_u32  s[sgprSrdD+0], s[sgprSrdD+0], s54       // incToNextRow: gra SRD += inc(lower)
s_addc_u32  s[sgprSrdD+1], s[sgprSrdD+1], 0        // incToNextRow: gra SRD += inc(upper)
_buffer_store_b16 v183, v6, s[sgprSrdD:sgprSrdD+3], 0, offen, offset:0,  sc0 sc1 // store D
v_cvt_f16_f32 v[vgprValuC+184], v[vgprValuC+184]   // convert C to fp16
_buffer_store_b16 v184, v6, s[sgprSrdD:sgprSrdD+3], 0, offen, offset:64,  sc0 sc1 // store D
v_cvt_f16_f32 v[vgprValuC+185], v[vgprValuC+185]   // convert C to fp16
_buffer_store_b16 v185, v6, s[sgprSrdD:sgprSrdD+3], 0, offen, offset:128,  sc0 sc1 // store D
v_cvt_f16_f32 v[vgprValuC+186], v[vgprValuC+186]   // convert C to fp16
_buffer_store_b16 v186, v6, s[sgprSrdD:sgprSrdD+3], 0, offen, offset:192,  sc0 sc1 // store D
v_cvt_f16_f32 v[vgprValuC+187], v[vgprValuC+187]   // convert C to fp16
_buffer_store_b16 v187, v6, s[sgprSrdD:sgprSrdD+3], 0, offen, offset:256,  sc0 sc1 // store D
v_cvt_f16_f32 v[vgprValuC+188], v[vgprValuC+188]   // convert C to fp16
_buffer_store_b16 v188, v6, s[sgprSrdD:sgprSrdD+3], 0, offen, offset:320,  sc0 sc1 // store D
v_cvt_f16_f32 v[vgprValuC+189], v[vgprValuC+189]   // convert C to fp16
_buffer_store_b16 v189, v6, s[sgprSrdD:sgprSrdD+3], 0, offen, offset:384,  sc0 sc1 // store D
v_cvt_f16_f32 v[vgprValuC+190], v[vgprValuC+190]   // convert C to fp16
s_lshl_b32  s54, s[sgprStrideD1J], 1               // incToNextRow: Scale by BPE
	;; [unrolled: 17-line block ×3, first 2 shown]
s_add_u32  s[sgprSrdD+0], s[sgprSrdD+0], s54       // incToNextRow: gra SRD += inc(lower)
s_addc_u32  s[sgprSrdD+1], s[sgprSrdD+1], 0        // incToNextRow: gra SRD += inc(upper)
_buffer_store_b16 v197, v6, s[sgprSrdD:sgprSrdD+3], 0, offen, offset:0,  sc0 sc1 // store D
v_cvt_f16_f32 v[vgprValuC+198], v[vgprValuC+198]   // convert C to fp16
_buffer_store_b16 v198, v6, s[sgprSrdD:sgprSrdD+3], 0, offen, offset:64,  sc0 sc1 // store D
v_cvt_f16_f32 v[vgprValuC+199], v[vgprValuC+199]   // convert C to fp16
	;; [unrolled: 2-line block ×7, first 2 shown]
s_mul_i32 s54, s[sgprStrideD1J], 58                // scale StrideD *= numRows(29) * bpe
s_add_u32  s[sgprSrdD+0], s[sgprSrdD+0], s54       // incToNextRow: gra SRD += inc(lower)
s_addc_u32  s[sgprSrdD+1], s[sgprSrdD+1], 0        // incToNextRow: gra SRD += inc(upper)
_buffer_store_b16 v204, v6, s[sgprSrdD:sgprSrdD+3], 0, offen, offset:0,  sc0 sc1 // store D
v_cvt_f16_f32 v[vgprValuC+205], v[vgprValuC+205]   // convert C to fp16
_buffer_store_b16 v205, v6, s[sgprSrdD:sgprSrdD+3], 0, offen, offset:64,  sc0 sc1 // store D
v_cvt_f16_f32 v[vgprValuC+206], v[vgprValuC+206]   // convert C to fp16
_buffer_store_b16 v206, v6, s[sgprSrdD:sgprSrdD+3], 0, offen, offset:128,  sc0 sc1 // store D
v_cvt_f16_f32 v[vgprValuC+207], v[vgprValuC+207]   // convert C to fp16
_buffer_store_b16 v207, v6, s[sgprSrdD:sgprSrdD+3], 0, offen, offset:192,  sc0 sc1 // store D
v_cvt_f16_f32 v[vgprValuC+208], v[vgprValuC+208]   // convert C to fp16
_buffer_store_b16 v208, v6, s[sgprSrdD:sgprSrdD+3], 0, offen, offset:256,  sc0 sc1 // store D
v_cvt_f16_f32 v[vgprValuC+209], v[vgprValuC+209]   // convert C to fp16
_buffer_store_b16 v209, v6, s[sgprSrdD:sgprSrdD+3], 0, offen, offset:320,  sc0 sc1 // store D
v_cvt_f16_f32 v[vgprValuC+210], v[vgprValuC+210]   // convert C to fp16
_buffer_store_b16 v210, v6, s[sgprSrdD:sgprSrdD+3], 0, offen, offset:384,  sc0 sc1 // store D
v_cvt_f16_f32 v[vgprValuC+211], v[vgprValuC+211]   // convert C to fp16
s_lshl_b32  s54, s[sgprStrideD1J], 1               // incToNextRow: Scale by BPE
s_add_u32  s[sgprSrdD+0], s[sgprSrdD+0], s54       // incToNextRow: gra SRD += inc(lower)
s_addc_u32  s[sgprSrdD+1], s[sgprSrdD+1], 0        // incToNextRow: gra SRD += inc(upper)
_buffer_store_b16 v211, v6, s[sgprSrdD:sgprSrdD+3], 0, offen, offset:0,  sc0 sc1 // store D
v_cvt_f16_f32 v[vgprValuC+212], v[vgprValuC+212]   // convert C to fp16
_buffer_store_b16 v212, v6, s[sgprSrdD:sgprSrdD+3], 0, offen, offset:64,  sc0 sc1 // store D
v_cvt_f16_f32 v[vgprValuC+213], v[vgprValuC+213]   // convert C to fp16
_buffer_store_b16 v213, v6, s[sgprSrdD:sgprSrdD+3], 0, offen, offset:128,  sc0 sc1 // store D
v_cvt_f16_f32 v[vgprValuC+214], v[vgprValuC+214]   // convert C to fp16
_buffer_store_b16 v214, v6, s[sgprSrdD:sgprSrdD+3], 0, offen, offset:192,  sc0 sc1 // store D
v_cvt_f16_f32 v[vgprValuC+215], v[vgprValuC+215]   // convert C to fp16
_buffer_store_b16 v215, v6, s[sgprSrdD:sgprSrdD+3], 0, offen, offset:256,  sc0 sc1 // store D
v_cvt_f16_f32 v[vgprValuC+216], v[vgprValuC+216]   // convert C to fp16
_buffer_store_b16 v216, v6, s[sgprSrdD:sgprSrdD+3], 0, offen, offset:320,  sc0 sc1 // store D
v_cvt_f16_f32 v[vgprValuC+217], v[vgprValuC+217]   // convert C to fp16
_buffer_store_b16 v217, v6, s[sgprSrdD:sgprSrdD+3], 0, offen, offset:384,  sc0 sc1 // store D
v_cvt_f16_f32 v[vgprValuC+218], v[vgprValuC+218]   // convert C to fp16
s_lshl_b32  s54, s[sgprStrideD1J], 1               // incToNextRow: Scale by BPE
	;; [unrolled: 17-line block ×3, first 2 shown]
s_add_u32  s[sgprSrdD+0], s[sgprSrdD+0], s54       // incToNextRow: gra SRD += inc(lower)
s_addc_u32  s[sgprSrdD+1], s[sgprSrdD+1], 0        // incToNextRow: gra SRD += inc(upper)
_buffer_store_b16 v225, v6, s[sgprSrdD:sgprSrdD+3], 0, offen, offset:0,  sc0 sc1 // store D
v_cvt_f16_f32 v[vgprValuC+226], v[vgprValuC+226]   // convert C to fp16
_buffer_store_b16 v226, v6, s[sgprSrdD:sgprSrdD+3], 0, offen, offset:64,  sc0 sc1 // store D
v_cvt_f16_f32 v[vgprValuC+227], v[vgprValuC+227]   // convert C to fp16
_buffer_store_b16 v227, v6, s[sgprSrdD:sgprSrdD+3], 0, offen, offset:128,  sc0 sc1 // store D
v_cvt_f16_f32 v[vgprValuC+228], v[vgprValuC+228]   // convert C to fp16
_buffer_store_b16 v228, v6, s[sgprSrdD:sgprSrdD+3], 0, offen, offset:192,  sc0 sc1 // store D
v_cvt_f16_f32 v[vgprValuC+229], v[vgprValuC+229]   // convert C to fp16
_buffer_store_b16 v229, v6, s[sgprSrdD:sgprSrdD+3], 0, offen, offset:256,  sc0 sc1 // store D
v_cvt_f16_f32 v[vgprValuC+230], v[vgprValuC+230]   // convert C to fp16
_buffer_store_b16 v230, v6, s[sgprSrdD:sgprSrdD+3], 0, offen, offset:320,  sc0 sc1 // store D
v_cvt_f16_f32 v[vgprValuC+231], v[vgprValuC+231]   // convert C to fp16
_buffer_store_b16 v231, v6, s[sgprSrdD:sgprSrdD+3], 0, offen, offset:384,  sc0 sc1 // store D
s_nop 0                                            // 1 wait state required when next inst writes vgprs held by previous dwordx4 store inst
s_branch label_GW_End_44                           // jump to end
GW_B0_E1_36:

/* edge=1, allocate 6 sgpr. perBatchTmpS=4 perBatchMaskS=2 perElementMaskS=0 elementsPerBatch=122 */
/* optSingleColVgpr=0 optSharedColVgpr=0 optSGPRUsage=BufferLoad_Edge_Mask optSrdIncForRow=0 */
s_sleep 5 // optimization: sync and wait
s_barrier

/******************************************/
/* Global Write Alpha Edge Batch #0 (d1,d0,vc1,vc0) = */
/*    (0,0,0,0:vw1); (0,1,0,0:vw1); (0,2,0,0:vw1); (0,3,0,0:vw1); (0,4,0,0:vw1); (0,5,0,0:vw1); (0,6,0,0:vw1); (0,0,1,0:vw1); (0,1,1,0:vw1); (0,2,1,0:vw1); (0,3,1,0:vw1); (0,4,1,0:vw1); (0,5,1,0:vw1); (0,6,1,0:vw1); (0,0,2,0:vw1); (0,1,2,0:vw1); (0,2,2,0:vw1); (0,3,2,0:vw1); (0,4,2,0:vw1); (0,5,2,0:vw1); (0,6,2,0:vw1); (0,0,3,0:vw1); (0,1,3,0:vw1); (0,2,3,0:vw1); (0,3,3,0:vw1); (0,4,3,0:vw1); (0,5,3,0:vw1); (0,6,3,0:vw1); (1,0,0,0:vw1); (1,1,0,0:vw1); (1,2,0,0:vw1); (1,3,0,0:vw1); (1,4,0,0:vw1); (1,5,0,0:vw1); (1,6,0,0:vw1); (1,0,1,0:vw1); (1,1,1,0:vw1); (1,2,1,0:vw1); (1,3,1,0:vw1); (1,4,1,0:vw1); (1,5,1,0:vw1); (1,6,1,0:vw1); (1,0,2,0:vw1); (1,1,2,0:vw1); (1,2,2,0:vw1); (1,3,2,0:vw1); (1,4,2,0:vw1); (1,5,2,0:vw1); (1,6,2,0:vw1); (1,0,3,0:vw1); (1,1,3,0:vw1); (1,2,3,0:vw1); (1,3,3,0:vw1); (1,4,3,0:vw1); (1,5,3,0:vw1); (1,6,3,0:vw1); (2,0,0,0:vw1); (2,1,0,0:vw1); (2,2,0,0:vw1); (2,3,0,0:vw1); (2,4,0,0:vw1); (2,5,0,0:vw1); (2,6,0,0:vw1); (2,0,1,0:vw1); (2,1,1,0:vw1); (2,2,1,0:vw1); (2,3,1,0:vw1); (2,4,1,0:vw1); (2,5,1,0:vw1); (2,6,1,0:vw1); (2,0,2,0:vw1); (2,1,2,0:vw1); (2,2,2,0:vw1); (2,3,2,0:vw1); (2,4,2,0:vw1); (2,5,2,0:vw1); (2,6,2,0:vw1); (2,0,3,0:vw1); (2,1,3,0:vw1); (2,2,3,0:vw1); (2,3,3,0:vw1); (2,4,3,0:vw1); (2,5,3,0:vw1); (2,6,3,0:vw1); (3,0,0,0:vw1); (3,1,0,0:vw1); (3,2,0,0:vw1); (3,3,0,0:vw1); (3,4,0,0:vw1); (3,5,0,0:vw1); (3,6,0,0:vw1); (3,0,1,0:vw1); (3,1,1,0:vw1); (3,2,1,0:vw1); (3,3,1,0:vw1); (3,4,1,0:vw1); (3,5,1,0:vw1); (3,6,1,0:vw1); (3,0,2,0:vw1); (3,1,2,0:vw1); (3,2,2,0:vw1); (3,3,2,0:vw1); (3,4,2,0:vw1); (3,5,2,0:vw1); (3,6,2,0:vw1); (3,0,3,0:vw1); (3,1,3,0:vw1); (3,2,3,0:vw1); (3,3,3,0:vw1); (3,4,3,0:vw1); (3,5,3,0:vw1); (3,6,3,0:vw1); (4,0,0,0:vw1); (4,1,0,0:vw1); (4,2,0,0:vw1); (4,3,0,0:vw1); (4,4,0,0:vw1); (4,5,0,0:vw1); (4,6,0,0:vw1); (4,0,1,0:vw1); (4,1,1,0:vw1); (4,2,1,0:vw1) */
/******************************************/

/* calc coords, apply mask, and issue loads (if necessary) */
/* (d1,vc1,d0,vc0)=(0,0,0,0) */
v_cmp_lt_u32 s[54:55], v0, s[sgprSizeI]            // coord0 < size0
v_cmp_lt_u32 s[58:59], v1, s[sgprSizeJ]            // coord1 < size1
s_and_b64 s[58:59], s[54:55], s[58:59]             // in0 && in1
_v_add_lshl_u32 v6, v3, v0, 0x1                    // scaleToBpe: accumulate d0 lower and *= bpe into Cin addr
v_cndmask_b32 v6, -1, v6, s[58:59]                 // LDD clip if OOB. offset
/* (d1,vc1,d0,vc0)=(0,0,1,0) */
_v_add_co_u32 v4, vcc, v0, 32                      // coord0.1: coord0 += d0*sg0*VW + vc0
v_cmp_lt_u32 s[54:55], v4, s[sgprSizeI]            // coord0 < size0
v_cmp_lt_u32 s[58:59], v1, s[sgprSizeJ]            // coord1 < size1
s_and_b64 s[58:59], s[54:55], s[58:59]             // in0 && in1
_v_add_lshl_u32 v8, v3, v4, 0x1                    // scaleToBpe: accumulate d0 lower and *= bpe into Cin addr
v_cndmask_b32 v8, -1, v8, s[58:59]                 // LDD clip if OOB. offset
/* (d1,vc1,d0,vc0)=(0,0,2,0) */
_v_add_co_u32 v4, vcc, v0, 64                      // coord0.1: coord0 += d0*sg0*VW + vc0
v_cmp_lt_u32 s[54:55], v4, s[sgprSizeI]            // coord0 < size0
v_cmp_lt_u32 s[58:59], v1, s[sgprSizeJ]            // coord1 < size1
s_and_b64 s[58:59], s[54:55], s[58:59]             // in0 && in1
_v_add_lshl_u32 v10, v3, v4, 0x1                   // scaleToBpe: accumulate d0 lower and *= bpe into Cin addr
v_cndmask_b32 v10, -1, v10, s[58:59]               // LDD clip if OOB. offset
/* (d1,vc1,d0,vc0)=(0,0,3,0) */
s_mov_b32 s54, 96                                  // coordOffset0 d0=3 vc0=0
_v_add_co_u32 v4, vcc, v0, s54                     // coord0.2: coord0 += d0*sg0*VW + vc0
v_cmp_lt_u32 s[54:55], v4, s[sgprSizeI]            // coord0 < size0
v_cmp_lt_u32 s[58:59], v1, s[sgprSizeJ]            // coord1 < size1
s_and_b64 s[58:59], s[54:55], s[58:59]             // in0 && in1
_v_add_lshl_u32 v12, v3, v4, 0x1                   // scaleToBpe: accumulate d0 lower and *= bpe into Cin addr
v_cndmask_b32 v12, -1, v12, s[58:59]               // LDD clip if OOB. offset
/* (d1,vc1,d0,vc0)=(0,0,4,0) */
s_mov_b32 s54, 128                                 // coordOffset0 d0=4 vc0=0
_v_add_co_u32 v4, vcc, v0, s54                     // coord0.2: coord0 += d0*sg0*VW + vc0
v_cmp_lt_u32 s[54:55], v4, s[sgprSizeI]            // coord0 < size0
v_cmp_lt_u32 s[58:59], v1, s[sgprSizeJ]            // coord1 < size1
s_and_b64 s[58:59], s[54:55], s[58:59]             // in0 && in1
_v_add_lshl_u32 v14, v3, v4, 0x1                   // scaleToBpe: accumulate d0 lower and *= bpe into Cin addr
v_cndmask_b32 v14, -1, v14, s[58:59]               // LDD clip if OOB. offset
/* (d1,vc1,d0,vc0)=(0,0,5,0) */
s_mov_b32 s54, 160                                 // coordOffset0 d0=5 vc0=0
_v_add_co_u32 v4, vcc, v0, s54                     // coord0.2: coord0 += d0*sg0*VW + vc0
v_cmp_lt_u32 s[54:55], v4, s[sgprSizeI]            // coord0 < size0
v_cmp_lt_u32 s[58:59], v1, s[sgprSizeJ]            // coord1 < size1
s_and_b64 s[58:59], s[54:55], s[58:59]             // in0 && in1
_v_add_lshl_u32 v16, v3, v4, 0x1                   // scaleToBpe: accumulate d0 lower and *= bpe into Cin addr
v_cndmask_b32 v16, -1, v16, s[58:59]               // LDD clip if OOB. offset
/* (d1,vc1,d0,vc0)=(0,0,6,0) */
s_mov_b32 s54, 192                                 // coordOffset0 d0=6 vc0=0
_v_add_co_u32 v4, vcc, v0, s54                     // coord0.2: coord0 += d0*sg0*VW + vc0
v_cmp_lt_u32 s[54:55], v4, s[sgprSizeI]            // coord0 < size0
v_cmp_lt_u32 s[58:59], v1, s[sgprSizeJ]            // coord1 < size1
s_and_b64 s[58:59], s[54:55], s[58:59]             // in0 && in1
_v_add_lshl_u32 v18, v3, v4, 0x1                   // scaleToBpe: accumulate d0 lower and *= bpe into Cin addr
v_cndmask_b32 v18, -1, v18, s[58:59]               // LDD clip if OOB. offset
/* (d1,vc1,d0,vc0)=(0,1,0,0) */
_v_add_co_u32 v1, vcc, v1, 1                       // coord1.1: coord1Vgpr += d1*sg1*VW + vc1

/* Fix for UseInitialStridesCD, emitAddressSetupCode */
_v_add_u32 v2, v2, s[sgprStrideC1J]                // ROWINC- Move cinRowPtr to next row
_v_add_u32 v3, v3, s[sgprStrideD1J]                // Move coutRowPtr to next row
v_cmp_lt_u32 s[54:55], v0, s[sgprSizeI]            // coord0 < size0
v_cmp_lt_u32 s[58:59], v1, s[sgprSizeJ]            // coord1 < size1
s_and_b64 s[58:59], s[54:55], s[58:59]             // in0 && in1
_v_add_lshl_u32 v20, v3, v0, 0x1                   // scaleToBpe: accumulate d0 lower and *= bpe into Cin addr
v_cndmask_b32 v20, -1, v20, s[58:59]               // LDD clip if OOB. offset
/* (d1,vc1,d0,vc0)=(0,1,1,0) */
_v_add_co_u32 v4, vcc, v0, 32                      // coord0.1: coord0 += d0*sg0*VW + vc0
v_cmp_lt_u32 s[54:55], v4, s[sgprSizeI]            // coord0 < size0
v_cmp_lt_u32 s[58:59], v1, s[sgprSizeJ]            // coord1 < size1
s_and_b64 s[58:59], s[54:55], s[58:59]             // in0 && in1
_v_add_lshl_u32 v22, v3, v4, 0x1                   // scaleToBpe: accumulate d0 lower and *= bpe into Cin addr
v_cndmask_b32 v22, -1, v22, s[58:59]               // LDD clip if OOB. offset
/* (d1,vc1,d0,vc0)=(0,1,2,0) */
_v_add_co_u32 v4, vcc, v0, 64                      // coord0.1: coord0 += d0*sg0*VW + vc0
v_cmp_lt_u32 s[54:55], v4, s[sgprSizeI]            // coord0 < size0
v_cmp_lt_u32 s[58:59], v1, s[sgprSizeJ]            // coord1 < size1
s_and_b64 s[58:59], s[54:55], s[58:59]             // in0 && in1
_v_add_lshl_u32 v24, v3, v4, 0x1                   // scaleToBpe: accumulate d0 lower and *= bpe into Cin addr
v_cndmask_b32 v24, -1, v24, s[58:59]               // LDD clip if OOB. offset
/* (d1,vc1,d0,vc0)=(0,1,3,0) */
s_mov_b32 s54, 96                                  // coordOffset0 d0=3 vc0=0
_v_add_co_u32 v4, vcc, v0, s54                     // coord0.2: coord0 += d0*sg0*VW + vc0
v_cmp_lt_u32 s[54:55], v4, s[sgprSizeI]            // coord0 < size0
v_cmp_lt_u32 s[58:59], v1, s[sgprSizeJ]            // coord1 < size1
s_and_b64 s[58:59], s[54:55], s[58:59]             // in0 && in1
_v_add_lshl_u32 v26, v3, v4, 0x1                   // scaleToBpe: accumulate d0 lower and *= bpe into Cin addr
v_cndmask_b32 v26, -1, v26, s[58:59]               // LDD clip if OOB. offset
/* (d1,vc1,d0,vc0)=(0,1,4,0) */
s_mov_b32 s54, 128                                 // coordOffset0 d0=4 vc0=0
_v_add_co_u32 v4, vcc, v0, s54                     // coord0.2: coord0 += d0*sg0*VW + vc0
v_cmp_lt_u32 s[54:55], v4, s[sgprSizeI]            // coord0 < size0
v_cmp_lt_u32 s[58:59], v1, s[sgprSizeJ]            // coord1 < size1
s_and_b64 s[58:59], s[54:55], s[58:59]             // in0 && in1
_v_add_lshl_u32 v28, v3, v4, 0x1                   // scaleToBpe: accumulate d0 lower and *= bpe into Cin addr
v_cndmask_b32 v28, -1, v28, s[58:59]               // LDD clip if OOB. offset
/* (d1,vc1,d0,vc0)=(0,1,5,0) */
s_mov_b32 s54, 160                                 // coordOffset0 d0=5 vc0=0
_v_add_co_u32 v4, vcc, v0, s54                     // coord0.2: coord0 += d0*sg0*VW + vc0
v_cmp_lt_u32 s[54:55], v4, s[sgprSizeI]            // coord0 < size0
v_cmp_lt_u32 s[58:59], v1, s[sgprSizeJ]            // coord1 < size1
s_and_b64 s[58:59], s[54:55], s[58:59]             // in0 && in1
_v_add_lshl_u32 v30, v3, v4, 0x1                   // scaleToBpe: accumulate d0 lower and *= bpe into Cin addr
v_cndmask_b32 v30, -1, v30, s[58:59]               // LDD clip if OOB. offset
/* (d1,vc1,d0,vc0)=(0,1,6,0) */
s_mov_b32 s54, 192                                 // coordOffset0 d0=6 vc0=0
_v_add_co_u32 v4, vcc, v0, s54                     // coord0.2: coord0 += d0*sg0*VW + vc0
v_cmp_lt_u32 s[54:55], v4, s[sgprSizeI]            // coord0 < size0
v_cmp_lt_u32 s[58:59], v1, s[sgprSizeJ]            // coord1 < size1
s_and_b64 s[58:59], s[54:55], s[58:59]             // in0 && in1
_v_add_lshl_u32 v32, v3, v4, 0x1                   // scaleToBpe: accumulate d0 lower and *= bpe into Cin addr
v_cndmask_b32 v32, -1, v32, s[58:59]               // LDD clip if OOB. offset
/* (d1,vc1,d0,vc0)=(0,2,0,0) */
_v_add_co_u32 v1, vcc, v1, 1                       // coord1.1: coord1Vgpr += d1*sg1*VW + vc1

/* Fix for UseInitialStridesCD, emitAddressSetupCode */
_v_add_u32 v2, v2, s[sgprStrideC1J]                // ROWINC- Move cinRowPtr to next row
_v_add_u32 v3, v3, s[sgprStrideD1J]                // Move coutRowPtr to next row
v_cmp_lt_u32 s[54:55], v0, s[sgprSizeI]            // coord0 < size0
v_cmp_lt_u32 s[58:59], v1, s[sgprSizeJ]            // coord1 < size1
s_and_b64 s[58:59], s[54:55], s[58:59]             // in0 && in1
_v_add_lshl_u32 v34, v3, v0, 0x1                   // scaleToBpe: accumulate d0 lower and *= bpe into Cin addr
v_cndmask_b32 v34, -1, v34, s[58:59]               // LDD clip if OOB. offset
/* (d1,vc1,d0,vc0)=(0,2,1,0) */
_v_add_co_u32 v4, vcc, v0, 32                      // coord0.1: coord0 += d0*sg0*VW + vc0
v_cmp_lt_u32 s[54:55], v4, s[sgprSizeI]            // coord0 < size0
v_cmp_lt_u32 s[58:59], v1, s[sgprSizeJ]            // coord1 < size1
s_and_b64 s[58:59], s[54:55], s[58:59]             // in0 && in1
_v_add_lshl_u32 v36, v3, v4, 0x1                   // scaleToBpe: accumulate d0 lower and *= bpe into Cin addr
v_cndmask_b32 v36, -1, v36, s[58:59]               // LDD clip if OOB. offset
	;; [unrolled: 57-line block ×3, first 2 shown]
/* (d1,vc1,d0,vc0)=(0,3,2,0) */
_v_add_co_u32 v4, vcc, v0, 64                      // coord0.1: coord0 += d0*sg0*VW + vc0
v_cmp_lt_u32 s[54:55], v4, s[sgprSizeI]            // coord0 < size0
v_cmp_lt_u32 s[58:59], v1, s[sgprSizeJ]            // coord1 < size1
s_and_b64 s[58:59], s[54:55], s[58:59]             // in0 && in1
_v_add_lshl_u32 v52, v3, v4, 0x1                   // scaleToBpe: accumulate d0 lower and *= bpe into Cin addr
v_cndmask_b32 v52, -1, v52, s[58:59]               // LDD clip if OOB. offset
/* (d1,vc1,d0,vc0)=(0,3,3,0) */
s_mov_b32 s54, 96                                  // coordOffset0 d0=3 vc0=0
_v_add_co_u32 v4, vcc, v0, s54                     // coord0.2: coord0 += d0*sg0*VW + vc0
v_cmp_lt_u32 s[54:55], v4, s[sgprSizeI]            // coord0 < size0
v_cmp_lt_u32 s[58:59], v1, s[sgprSizeJ]            // coord1 < size1
s_and_b64 s[58:59], s[54:55], s[58:59]             // in0 && in1
_v_add_lshl_u32 v54, v3, v4, 0x1                   // scaleToBpe: accumulate d0 lower and *= bpe into Cin addr
v_cndmask_b32 v54, -1, v54, s[58:59]               // LDD clip if OOB. offset
/* (d1,vc1,d0,vc0)=(0,3,4,0) */
s_mov_b32 s54, 128                                 // coordOffset0 d0=4 vc0=0
_v_add_co_u32 v4, vcc, v0, s54                     // coord0.2: coord0 += d0*sg0*VW + vc0
v_cmp_lt_u32 s[54:55], v4, s[sgprSizeI]            // coord0 < size0
v_cmp_lt_u32 s[58:59], v1, s[sgprSizeJ]            // coord1 < size1
s_and_b64 s[58:59], s[54:55], s[58:59]             // in0 && in1
_v_add_lshl_u32 v56, v3, v4, 0x1                   // scaleToBpe: accumulate d0 lower and *= bpe into Cin addr
v_cndmask_b32 v56, -1, v56, s[58:59]               // LDD clip if OOB. offset
/* (d1,vc1,d0,vc0)=(0,3,5,0) */
s_mov_b32 s54, 160                                 // coordOffset0 d0=5 vc0=0
	;; [unrolled: 8-line block ×3, first 2 shown]
_v_add_co_u32 v4, vcc, v0, s54                     // coord0.2: coord0 += d0*sg0*VW + vc0
v_cmp_lt_u32 s[54:55], v4, s[sgprSizeI]            // coord0 < size0
v_cmp_lt_u32 s[58:59], v1, s[sgprSizeJ]            // coord1 < size1
s_and_b64 s[58:59], s[54:55], s[58:59]             // in0 && in1
_v_add_lshl_u32 v60, v3, v4, 0x1                   // scaleToBpe: accumulate d0 lower and *= bpe into Cin addr
v_cndmask_b32 v60, -1, v60, s[58:59]               // LDD clip if OOB. offset
/* (d1,vc1,d0,vc0)=(1,0,0,0) */
_v_add_co_u32 v1, vcc, v1, 29                      // coord1.1: coord1Vgpr += d1*sg1*VW + vc1

/* Fix for UseInitialStridesCD, emitAddressSetupCode */
s_mul_i32 s54, s[sgprStrideC1J], 29                // scale stride
_v_add_u32 v2, v2, s54                             // ROWINC- Move cinRowPtr to next row
s_mul_i32 s54, s[sgprStrideD1J], 29                // scale stride
_v_add_u32 v3, v3, s54                             // Move coutRowPtr to next row
v_cmp_lt_u32 s[54:55], v0, s[sgprSizeI]            // coord0 < size0
v_cmp_lt_u32 s[58:59], v1, s[sgprSizeJ]            // coord1 < size1
s_and_b64 s[58:59], s[54:55], s[58:59]             // in0 && in1
_v_add_lshl_u32 v62, v3, v0, 0x1                   // scaleToBpe: accumulate d0 lower and *= bpe into Cin addr
v_cndmask_b32 v62, -1, v62, s[58:59]               // LDD clip if OOB. offset
/* (d1,vc1,d0,vc0)=(1,0,1,0) */
_v_add_co_u32 v4, vcc, v0, 32                      // coord0.1: coord0 += d0*sg0*VW + vc0
v_cmp_lt_u32 s[54:55], v4, s[sgprSizeI]            // coord0 < size0
v_cmp_lt_u32 s[58:59], v1, s[sgprSizeJ]            // coord1 < size1
s_and_b64 s[58:59], s[54:55], s[58:59]             // in0 && in1
_v_add_lshl_u32 v64, v3, v4, 0x1                   // scaleToBpe: accumulate d0 lower and *= bpe into Cin addr
v_cndmask_b32 v64, -1, v64, s[58:59]               // LDD clip if OOB. offset
/* (d1,vc1,d0,vc0)=(1,0,2,0) */
_v_add_co_u32 v4, vcc, v0, 64                      // coord0.1: coord0 += d0*sg0*VW + vc0
v_cmp_lt_u32 s[54:55], v4, s[sgprSizeI]            // coord0 < size0
v_cmp_lt_u32 s[58:59], v1, s[sgprSizeJ]            // coord1 < size1
s_and_b64 s[58:59], s[54:55], s[58:59]             // in0 && in1
_v_add_lshl_u32 v66, v3, v4, 0x1                   // scaleToBpe: accumulate d0 lower and *= bpe into Cin addr
v_cndmask_b32 v66, -1, v66, s[58:59]               // LDD clip if OOB. offset
/* (d1,vc1,d0,vc0)=(1,0,3,0) */
s_mov_b32 s54, 96                                  // coordOffset0 d0=3 vc0=0
_v_add_co_u32 v4, vcc, v0, s54                     // coord0.2: coord0 += d0*sg0*VW + vc0
v_cmp_lt_u32 s[54:55], v4, s[sgprSizeI]            // coord0 < size0
v_cmp_lt_u32 s[58:59], v1, s[sgprSizeJ]            // coord1 < size1
s_and_b64 s[58:59], s[54:55], s[58:59]             // in0 && in1
_v_add_lshl_u32 v68, v3, v4, 0x1                   // scaleToBpe: accumulate d0 lower and *= bpe into Cin addr
v_cndmask_b32 v68, -1, v68, s[58:59]               // LDD clip if OOB. offset
/* (d1,vc1,d0,vc0)=(1,0,4,0) */
s_mov_b32 s54, 128                                 // coordOffset0 d0=4 vc0=0
_v_add_co_u32 v4, vcc, v0, s54                     // coord0.2: coord0 += d0*sg0*VW + vc0
v_cmp_lt_u32 s[54:55], v4, s[sgprSizeI]            // coord0 < size0
v_cmp_lt_u32 s[58:59], v1, s[sgprSizeJ]            // coord1 < size1
s_and_b64 s[58:59], s[54:55], s[58:59]             // in0 && in1
_v_add_lshl_u32 v70, v3, v4, 0x1                   // scaleToBpe: accumulate d0 lower and *= bpe into Cin addr
v_cndmask_b32 v70, -1, v70, s[58:59]               // LDD clip if OOB. offset
/* (d1,vc1,d0,vc0)=(1,0,5,0) */
s_mov_b32 s54, 160                                 // coordOffset0 d0=5 vc0=0
	;; [unrolled: 8-line block ×3, first 2 shown]
_v_add_co_u32 v4, vcc, v0, s54                     // coord0.2: coord0 += d0*sg0*VW + vc0
v_cmp_lt_u32 s[54:55], v4, s[sgprSizeI]            // coord0 < size0
v_cmp_lt_u32 s[58:59], v1, s[sgprSizeJ]            // coord1 < size1
s_and_b64 s[58:59], s[54:55], s[58:59]             // in0 && in1
_v_add_lshl_u32 v74, v3, v4, 0x1                   // scaleToBpe: accumulate d0 lower and *= bpe into Cin addr
v_cndmask_b32 v74, -1, v74, s[58:59]               // LDD clip if OOB. offset
/* (d1,vc1,d0,vc0)=(1,1,0,0) */
_v_add_co_u32 v1, vcc, v1, 1                       // coord1.1: coord1Vgpr += d1*sg1*VW + vc1

/* Fix for UseInitialStridesCD, emitAddressSetupCode */
_v_add_u32 v2, v2, s[sgprStrideC1J]                // ROWINC- Move cinRowPtr to next row
_v_add_u32 v3, v3, s[sgprStrideD1J]                // Move coutRowPtr to next row
v_cmp_lt_u32 s[54:55], v0, s[sgprSizeI]            // coord0 < size0
v_cmp_lt_u32 s[58:59], v1, s[sgprSizeJ]            // coord1 < size1
s_and_b64 s[58:59], s[54:55], s[58:59]             // in0 && in1
_v_add_lshl_u32 v76, v3, v0, 0x1                   // scaleToBpe: accumulate d0 lower and *= bpe into Cin addr
v_cndmask_b32 v76, -1, v76, s[58:59]               // LDD clip if OOB. offset
/* (d1,vc1,d0,vc0)=(1,1,1,0) */
_v_add_co_u32 v4, vcc, v0, 32                      // coord0.1: coord0 += d0*sg0*VW + vc0
v_cmp_lt_u32 s[54:55], v4, s[sgprSizeI]            // coord0 < size0
v_cmp_lt_u32 s[58:59], v1, s[sgprSizeJ]            // coord1 < size1
s_and_b64 s[58:59], s[54:55], s[58:59]             // in0 && in1
_v_add_lshl_u32 v78, v3, v4, 0x1                   // scaleToBpe: accumulate d0 lower and *= bpe into Cin addr
v_cndmask_b32 v78, -1, v78, s[58:59]               // LDD clip if OOB. offset
/* (d1,vc1,d0,vc0)=(1,1,2,0) */
_v_add_co_u32 v4, vcc, v0, 64                      // coord0.1: coord0 += d0*sg0*VW + vc0
v_cmp_lt_u32 s[54:55], v4, s[sgprSizeI]            // coord0 < size0
v_cmp_lt_u32 s[58:59], v1, s[sgprSizeJ]            // coord1 < size1
s_and_b64 s[58:59], s[54:55], s[58:59]             // in0 && in1
_v_add_lshl_u32 v80, v3, v4, 0x1                   // scaleToBpe: accumulate d0 lower and *= bpe into Cin addr
v_cndmask_b32 v80, -1, v80, s[58:59]               // LDD clip if OOB. offset
/* (d1,vc1,d0,vc0)=(1,1,3,0) */
s_mov_b32 s54, 96                                  // coordOffset0 d0=3 vc0=0
_v_add_co_u32 v4, vcc, v0, s54                     // coord0.2: coord0 += d0*sg0*VW + vc0
v_cmp_lt_u32 s[54:55], v4, s[sgprSizeI]            // coord0 < size0
v_cmp_lt_u32 s[58:59], v1, s[sgprSizeJ]            // coord1 < size1
s_and_b64 s[58:59], s[54:55], s[58:59]             // in0 && in1
_v_add_lshl_u32 v82, v3, v4, 0x1                   // scaleToBpe: accumulate d0 lower and *= bpe into Cin addr
v_cndmask_b32 v82, -1, v82, s[58:59]               // LDD clip if OOB. offset
/* (d1,vc1,d0,vc0)=(1,1,4,0) */
s_mov_b32 s54, 128                                 // coordOffset0 d0=4 vc0=0
_v_add_co_u32 v4, vcc, v0, s54                     // coord0.2: coord0 += d0*sg0*VW + vc0
v_cmp_lt_u32 s[54:55], v4, s[sgprSizeI]            // coord0 < size0
v_cmp_lt_u32 s[58:59], v1, s[sgprSizeJ]            // coord1 < size1
s_and_b64 s[58:59], s[54:55], s[58:59]             // in0 && in1
_v_add_lshl_u32 v84, v3, v4, 0x1                   // scaleToBpe: accumulate d0 lower and *= bpe into Cin addr
v_cndmask_b32 v84, -1, v84, s[58:59]               // LDD clip if OOB. offset
/* (d1,vc1,d0,vc0)=(1,1,5,0) */
s_mov_b32 s54, 160                                 // coordOffset0 d0=5 vc0=0
	;; [unrolled: 8-line block ×3, first 2 shown]
_v_add_co_u32 v4, vcc, v0, s54                     // coord0.2: coord0 += d0*sg0*VW + vc0
v_cmp_lt_u32 s[54:55], v4, s[sgprSizeI]            // coord0 < size0
v_cmp_lt_u32 s[58:59], v1, s[sgprSizeJ]            // coord1 < size1
s_and_b64 s[58:59], s[54:55], s[58:59]             // in0 && in1
_v_add_lshl_u32 v88, v3, v4, 0x1                   // scaleToBpe: accumulate d0 lower and *= bpe into Cin addr
v_cndmask_b32 v88, -1, v88, s[58:59]               // LDD clip if OOB. offset
/* (d1,vc1,d0,vc0)=(1,2,0,0) */
_v_add_co_u32 v1, vcc, v1, 1                       // coord1.1: coord1Vgpr += d1*sg1*VW + vc1

/* Fix for UseInitialStridesCD, emitAddressSetupCode */
_v_add_u32 v2, v2, s[sgprStrideC1J]                // ROWINC- Move cinRowPtr to next row
_v_add_u32 v3, v3, s[sgprStrideD1J]                // Move coutRowPtr to next row
v_cmp_lt_u32 s[54:55], v0, s[sgprSizeI]            // coord0 < size0
v_cmp_lt_u32 s[58:59], v1, s[sgprSizeJ]            // coord1 < size1
s_and_b64 s[58:59], s[54:55], s[58:59]             // in0 && in1
_v_add_lshl_u32 v90, v3, v0, 0x1                   // scaleToBpe: accumulate d0 lower and *= bpe into Cin addr
v_cndmask_b32 v90, -1, v90, s[58:59]               // LDD clip if OOB. offset
/* (d1,vc1,d0,vc0)=(1,2,1,0) */
_v_add_co_u32 v4, vcc, v0, 32                      // coord0.1: coord0 += d0*sg0*VW + vc0
v_cmp_lt_u32 s[54:55], v4, s[sgprSizeI]            // coord0 < size0
v_cmp_lt_u32 s[58:59], v1, s[sgprSizeJ]            // coord1 < size1
s_and_b64 s[58:59], s[54:55], s[58:59]             // in0 && in1
_v_add_lshl_u32 v92, v3, v4, 0x1                   // scaleToBpe: accumulate d0 lower and *= bpe into Cin addr
v_cndmask_b32 v92, -1, v92, s[58:59]               // LDD clip if OOB. offset
/* (d1,vc1,d0,vc0)=(1,2,2,0) */
_v_add_co_u32 v4, vcc, v0, 64                      // coord0.1: coord0 += d0*sg0*VW + vc0
v_cmp_lt_u32 s[54:55], v4, s[sgprSizeI]            // coord0 < size0
v_cmp_lt_u32 s[58:59], v1, s[sgprSizeJ]            // coord1 < size1
s_and_b64 s[58:59], s[54:55], s[58:59]             // in0 && in1
_v_add_lshl_u32 v94, v3, v4, 0x1                   // scaleToBpe: accumulate d0 lower and *= bpe into Cin addr
v_cndmask_b32 v94, -1, v94, s[58:59]               // LDD clip if OOB. offset
/* (d1,vc1,d0,vc0)=(1,2,3,0) */
s_mov_b32 s54, 96                                  // coordOffset0 d0=3 vc0=0
_v_add_co_u32 v4, vcc, v0, s54                     // coord0.2: coord0 += d0*sg0*VW + vc0
v_cmp_lt_u32 s[54:55], v4, s[sgprSizeI]            // coord0 < size0
v_cmp_lt_u32 s[58:59], v1, s[sgprSizeJ]            // coord1 < size1
s_and_b64 s[58:59], s[54:55], s[58:59]             // in0 && in1
_v_add_lshl_u32 v96, v3, v4, 0x1                   // scaleToBpe: accumulate d0 lower and *= bpe into Cin addr
v_cndmask_b32 v96, -1, v96, s[58:59]               // LDD clip if OOB. offset
/* (d1,vc1,d0,vc0)=(1,2,4,0) */
s_mov_b32 s54, 128                                 // coordOffset0 d0=4 vc0=0
_v_add_co_u32 v4, vcc, v0, s54                     // coord0.2: coord0 += d0*sg0*VW + vc0
v_cmp_lt_u32 s[54:55], v4, s[sgprSizeI]            // coord0 < size0
v_cmp_lt_u32 s[58:59], v1, s[sgprSizeJ]            // coord1 < size1
s_and_b64 s[58:59], s[54:55], s[58:59]             // in0 && in1
_v_add_lshl_u32 v98, v3, v4, 0x1                   // scaleToBpe: accumulate d0 lower and *= bpe into Cin addr
v_cndmask_b32 v98, -1, v98, s[58:59]               // LDD clip if OOB. offset
/* (d1,vc1,d0,vc0)=(1,2,5,0) */
s_mov_b32 s54, 160                                 // coordOffset0 d0=5 vc0=0
_v_add_co_u32 v4, vcc, v0, s54                     // coord0.2: coord0 += d0*sg0*VW + vc0
v_cmp_lt_u32 s[54:55], v4, s[sgprSizeI]            // coord0 < size0
v_cmp_lt_u32 s[58:59], v1, s[sgprSizeJ]            // coord1 < size1
s_and_b64 s[58:59], s[54:55], s[58:59]             // in0 && in1
_v_add_lshl_u32 v100, v3, v4, 0x1                  // scaleToBpe: accumulate d0 lower and *= bpe into Cin addr
v_cndmask_b32 v100, -1, v100, s[58:59]             // LDD clip if OOB. offset
/* (d1,vc1,d0,vc0)=(1,2,6,0) */
s_mov_b32 s54, 192                                 // coordOffset0 d0=6 vc0=0
_v_add_co_u32 v4, vcc, v0, s54                     // coord0.2: coord0 += d0*sg0*VW + vc0
v_cmp_lt_u32 s[54:55], v4, s[sgprSizeI]            // coord0 < size0
v_cmp_lt_u32 s[58:59], v1, s[sgprSizeJ]            // coord1 < size1
s_and_b64 s[58:59], s[54:55], s[58:59]             // in0 && in1
_v_add_lshl_u32 v102, v3, v4, 0x1                  // scaleToBpe: accumulate d0 lower and *= bpe into Cin addr
v_cndmask_b32 v102, -1, v102, s[58:59]             // LDD clip if OOB. offset
/* (d1,vc1,d0,vc0)=(1,3,0,0) */
_v_add_co_u32 v1, vcc, v1, 1                       // coord1.1: coord1Vgpr += d1*sg1*VW + vc1

/* Fix for UseInitialStridesCD, emitAddressSetupCode */
_v_add_u32 v2, v2, s[sgprStrideC1J]                // ROWINC- Move cinRowPtr to next row
_v_add_u32 v3, v3, s[sgprStrideD1J]                // Move coutRowPtr to next row
v_cmp_lt_u32 s[54:55], v0, s[sgprSizeI]            // coord0 < size0
v_cmp_lt_u32 s[58:59], v1, s[sgprSizeJ]            // coord1 < size1
s_and_b64 s[58:59], s[54:55], s[58:59]             // in0 && in1
_v_add_lshl_u32 v104, v3, v0, 0x1                  // scaleToBpe: accumulate d0 lower and *= bpe into Cin addr
v_cndmask_b32 v104, -1, v104, s[58:59]             // LDD clip if OOB. offset
/* (d1,vc1,d0,vc0)=(1,3,1,0) */
_v_add_co_u32 v4, vcc, v0, 32                      // coord0.1: coord0 += d0*sg0*VW + vc0
v_cmp_lt_u32 s[54:55], v4, s[sgprSizeI]            // coord0 < size0
v_cmp_lt_u32 s[58:59], v1, s[sgprSizeJ]            // coord1 < size1
s_and_b64 s[58:59], s[54:55], s[58:59]             // in0 && in1
_v_add_lshl_u32 v106, v3, v4, 0x1                  // scaleToBpe: accumulate d0 lower and *= bpe into Cin addr
v_cndmask_b32 v106, -1, v106, s[58:59]             // LDD clip if OOB. offset
/* (d1,vc1,d0,vc0)=(1,3,2,0) */
_v_add_co_u32 v4, vcc, v0, 64                      // coord0.1: coord0 += d0*sg0*VW + vc0
v_cmp_lt_u32 s[54:55], v4, s[sgprSizeI]            // coord0 < size0
v_cmp_lt_u32 s[58:59], v1, s[sgprSizeJ]            // coord1 < size1
s_and_b64 s[58:59], s[54:55], s[58:59]             // in0 && in1
_v_add_lshl_u32 v108, v3, v4, 0x1                  // scaleToBpe: accumulate d0 lower and *= bpe into Cin addr
v_cndmask_b32 v108, -1, v108, s[58:59]             // LDD clip if OOB. offset
/* (d1,vc1,d0,vc0)=(1,3,3,0) */
s_mov_b32 s54, 96                                  // coordOffset0 d0=3 vc0=0
_v_add_co_u32 v4, vcc, v0, s54                     // coord0.2: coord0 += d0*sg0*VW + vc0
v_cmp_lt_u32 s[54:55], v4, s[sgprSizeI]            // coord0 < size0
v_cmp_lt_u32 s[58:59], v1, s[sgprSizeJ]            // coord1 < size1
s_and_b64 s[58:59], s[54:55], s[58:59]             // in0 && in1
_v_add_lshl_u32 v110, v3, v4, 0x1                  // scaleToBpe: accumulate d0 lower and *= bpe into Cin addr
v_cndmask_b32 v110, -1, v110, s[58:59]             // LDD clip if OOB. offset
/* (d1,vc1,d0,vc0)=(1,3,4,0) */
s_mov_b32 s54, 128                                 // coordOffset0 d0=4 vc0=0
_v_add_co_u32 v4, vcc, v0, s54                     // coord0.2: coord0 += d0*sg0*VW + vc0
v_cmp_lt_u32 s[54:55], v4, s[sgprSizeI]            // coord0 < size0
v_cmp_lt_u32 s[58:59], v1, s[sgprSizeJ]            // coord1 < size1
s_and_b64 s[58:59], s[54:55], s[58:59]             // in0 && in1
_v_add_lshl_u32 v112, v3, v4, 0x1                  // scaleToBpe: accumulate d0 lower and *= bpe into Cin addr
v_cndmask_b32 v112, -1, v112, s[58:59]             // LDD clip if OOB. offset
/* (d1,vc1,d0,vc0)=(1,3,5,0) */
s_mov_b32 s54, 160                                 // coordOffset0 d0=5 vc0=0
	;; [unrolled: 8-line block ×3, first 2 shown]
_v_add_co_u32 v4, vcc, v0, s54                     // coord0.2: coord0 += d0*sg0*VW + vc0
v_cmp_lt_u32 s[54:55], v4, s[sgprSizeI]            // coord0 < size0
v_cmp_lt_u32 s[58:59], v1, s[sgprSizeJ]            // coord1 < size1
s_and_b64 s[58:59], s[54:55], s[58:59]             // in0 && in1
_v_add_lshl_u32 v116, v3, v4, 0x1                  // scaleToBpe: accumulate d0 lower and *= bpe into Cin addr
v_cndmask_b32 v116, -1, v116, s[58:59]             // LDD clip if OOB. offset
/* (d1,vc1,d0,vc0)=(2,0,0,0) */
_v_add_co_u32 v1, vcc, v1, 29                      // coord1.1: coord1Vgpr += d1*sg1*VW + vc1

/* Fix for UseInitialStridesCD, emitAddressSetupCode */
s_mul_i32 s54, s[sgprStrideC1J], 29                // scale stride
_v_add_u32 v2, v2, s54                             // ROWINC- Move cinRowPtr to next row
s_mul_i32 s54, s[sgprStrideD1J], 29                // scale stride
_v_add_u32 v3, v3, s54                             // Move coutRowPtr to next row
v_cmp_lt_u32 s[54:55], v0, s[sgprSizeI]            // coord0 < size0
v_cmp_lt_u32 s[58:59], v1, s[sgprSizeJ]            // coord1 < size1
s_and_b64 s[58:59], s[54:55], s[58:59]             // in0 && in1
_v_add_lshl_u32 v118, v3, v0, 0x1                  // scaleToBpe: accumulate d0 lower and *= bpe into Cin addr
v_cndmask_b32 v118, -1, v118, s[58:59]             // LDD clip if OOB. offset
/* (d1,vc1,d0,vc0)=(2,0,1,0) */
_v_add_co_u32 v4, vcc, v0, 32                      // coord0.1: coord0 += d0*sg0*VW + vc0
v_cmp_lt_u32 s[54:55], v4, s[sgprSizeI]            // coord0 < size0
v_cmp_lt_u32 s[58:59], v1, s[sgprSizeJ]            // coord1 < size1
s_and_b64 s[58:59], s[54:55], s[58:59]             // in0 && in1
_v_add_lshl_u32 v120, v3, v4, 0x1                  // scaleToBpe: accumulate d0 lower and *= bpe into Cin addr
v_cndmask_b32 v120, -1, v120, s[58:59]             // LDD clip if OOB. offset
/* (d1,vc1,d0,vc0)=(2,0,2,0) */
_v_add_co_u32 v4, vcc, v0, 64                      // coord0.1: coord0 += d0*sg0*VW + vc0
v_cmp_lt_u32 s[54:55], v4, s[sgprSizeI]            // coord0 < size0
v_cmp_lt_u32 s[58:59], v1, s[sgprSizeJ]            // coord1 < size1
s_and_b64 s[58:59], s[54:55], s[58:59]             // in0 && in1
_v_add_lshl_u32 v122, v3, v4, 0x1                  // scaleToBpe: accumulate d0 lower and *= bpe into Cin addr
v_cndmask_b32 v122, -1, v122, s[58:59]             // LDD clip if OOB. offset
/* (d1,vc1,d0,vc0)=(2,0,3,0) */
s_mov_b32 s54, 96                                  // coordOffset0 d0=3 vc0=0
_v_add_co_u32 v4, vcc, v0, s54                     // coord0.2: coord0 += d0*sg0*VW + vc0
v_cmp_lt_u32 s[54:55], v4, s[sgprSizeI]            // coord0 < size0
v_cmp_lt_u32 s[58:59], v1, s[sgprSizeJ]            // coord1 < size1
s_and_b64 s[58:59], s[54:55], s[58:59]             // in0 && in1
_v_add_lshl_u32 v124, v3, v4, 0x1                  // scaleToBpe: accumulate d0 lower and *= bpe into Cin addr
v_cndmask_b32 v124, -1, v124, s[58:59]             // LDD clip if OOB. offset
/* (d1,vc1,d0,vc0)=(2,0,4,0) */
s_mov_b32 s54, 128                                 // coordOffset0 d0=4 vc0=0
_v_add_co_u32 v4, vcc, v0, s54                     // coord0.2: coord0 += d0*sg0*VW + vc0
v_cmp_lt_u32 s[54:55], v4, s[sgprSizeI]            // coord0 < size0
v_cmp_lt_u32 s[58:59], v1, s[sgprSizeJ]            // coord1 < size1
s_and_b64 s[58:59], s[54:55], s[58:59]             // in0 && in1
_v_add_lshl_u32 v126, v3, v4, 0x1                  // scaleToBpe: accumulate d0 lower and *= bpe into Cin addr
v_cndmask_b32 v126, -1, v126, s[58:59]             // LDD clip if OOB. offset
/* (d1,vc1,d0,vc0)=(2,0,5,0) */
s_mov_b32 s54, 160                                 // coordOffset0 d0=5 vc0=0
_v_add_co_u32 v4, vcc, v0, s54                     // coord0.2: coord0 += d0*sg0*VW + vc0
v_cmp_lt_u32 s[54:55], v4, s[sgprSizeI]            // coord0 < size0
v_cmp_lt_u32 s[58:59], v1, s[sgprSizeJ]            // coord1 < size1
s_and_b64 s[58:59], s[54:55], s[58:59]             // in0 && in1
_v_add_lshl_u32 v128, v3, v4, 0x1                  // scaleToBpe: accumulate d0 lower and *= bpe into Cin addr
v_cndmask_b32 v128, -1, v128, s[58:59]             // LDD clip if OOB. offset
/* (d1,vc1,d0,vc0)=(2,0,6,0) */
s_mov_b32 s54, 192                                 // coordOffset0 d0=6 vc0=0
_v_add_co_u32 v4, vcc, v0, s54                     // coord0.2: coord0 += d0*sg0*VW + vc0
v_cmp_lt_u32 s[54:55], v4, s[sgprSizeI]            // coord0 < size0
v_cmp_lt_u32 s[58:59], v1, s[sgprSizeJ]            // coord1 < size1
s_and_b64 s[58:59], s[54:55], s[58:59]             // in0 && in1
_v_add_lshl_u32 v130, v3, v4, 0x1                  // scaleToBpe: accumulate d0 lower and *= bpe into Cin addr
v_cndmask_b32 v130, -1, v130, s[58:59]             // LDD clip if OOB. offset
/* (d1,vc1,d0,vc0)=(2,1,0,0) */
_v_add_co_u32 v1, vcc, v1, 1                       // coord1.1: coord1Vgpr += d1*sg1*VW + vc1

/* Fix for UseInitialStridesCD, emitAddressSetupCode */
_v_add_u32 v2, v2, s[sgprStrideC1J]                // ROWINC- Move cinRowPtr to next row
_v_add_u32 v3, v3, s[sgprStrideD1J]                // Move coutRowPtr to next row
v_cmp_lt_u32 s[54:55], v0, s[sgprSizeI]            // coord0 < size0
v_cmp_lt_u32 s[58:59], v1, s[sgprSizeJ]            // coord1 < size1
s_and_b64 s[58:59], s[54:55], s[58:59]             // in0 && in1
_v_add_lshl_u32 v132, v3, v0, 0x1                  // scaleToBpe: accumulate d0 lower and *= bpe into Cin addr
v_cndmask_b32 v132, -1, v132, s[58:59]             // LDD clip if OOB. offset
/* (d1,vc1,d0,vc0)=(2,1,1,0) */
_v_add_co_u32 v4, vcc, v0, 32                      // coord0.1: coord0 += d0*sg0*VW + vc0
v_cmp_lt_u32 s[54:55], v4, s[sgprSizeI]            // coord0 < size0
v_cmp_lt_u32 s[58:59], v1, s[sgprSizeJ]            // coord1 < size1
s_and_b64 s[58:59], s[54:55], s[58:59]             // in0 && in1
_v_add_lshl_u32 v134, v3, v4, 0x1                  // scaleToBpe: accumulate d0 lower and *= bpe into Cin addr
v_cndmask_b32 v134, -1, v134, s[58:59]             // LDD clip if OOB. offset
/* (d1,vc1,d0,vc0)=(2,1,2,0) */
_v_add_co_u32 v4, vcc, v0, 64                      // coord0.1: coord0 += d0*sg0*VW + vc0
v_cmp_lt_u32 s[54:55], v4, s[sgprSizeI]            // coord0 < size0
v_cmp_lt_u32 s[58:59], v1, s[sgprSizeJ]            // coord1 < size1
s_and_b64 s[58:59], s[54:55], s[58:59]             // in0 && in1
_v_add_lshl_u32 v136, v3, v4, 0x1                  // scaleToBpe: accumulate d0 lower and *= bpe into Cin addr
v_cndmask_b32 v136, -1, v136, s[58:59]             // LDD clip if OOB. offset
/* (d1,vc1,d0,vc0)=(2,1,3,0) */
s_mov_b32 s54, 96                                  // coordOffset0 d0=3 vc0=0
_v_add_co_u32 v4, vcc, v0, s54                     // coord0.2: coord0 += d0*sg0*VW + vc0
v_cmp_lt_u32 s[54:55], v4, s[sgprSizeI]            // coord0 < size0
v_cmp_lt_u32 s[58:59], v1, s[sgprSizeJ]            // coord1 < size1
s_and_b64 s[58:59], s[54:55], s[58:59]             // in0 && in1
_v_add_lshl_u32 v138, v3, v4, 0x1                  // scaleToBpe: accumulate d0 lower and *= bpe into Cin addr
v_cndmask_b32 v138, -1, v138, s[58:59]             // LDD clip if OOB. offset
/* (d1,vc1,d0,vc0)=(2,1,4,0) */
s_mov_b32 s54, 128                                 // coordOffset0 d0=4 vc0=0
_v_add_co_u32 v4, vcc, v0, s54                     // coord0.2: coord0 += d0*sg0*VW + vc0
v_cmp_lt_u32 s[54:55], v4, s[sgprSizeI]            // coord0 < size0
v_cmp_lt_u32 s[58:59], v1, s[sgprSizeJ]            // coord1 < size1
s_and_b64 s[58:59], s[54:55], s[58:59]             // in0 && in1
_v_add_lshl_u32 v140, v3, v4, 0x1                  // scaleToBpe: accumulate d0 lower and *= bpe into Cin addr
v_cndmask_b32 v140, -1, v140, s[58:59]             // LDD clip if OOB. offset
/* (d1,vc1,d0,vc0)=(2,1,5,0) */
s_mov_b32 s54, 160                                 // coordOffset0 d0=5 vc0=0
_v_add_co_u32 v4, vcc, v0, s54                     // coord0.2: coord0 += d0*sg0*VW + vc0
v_cmp_lt_u32 s[54:55], v4, s[sgprSizeI]            // coord0 < size0
v_cmp_lt_u32 s[58:59], v1, s[sgprSizeJ]            // coord1 < size1
s_and_b64 s[58:59], s[54:55], s[58:59]             // in0 && in1
_v_add_lshl_u32 v142, v3, v4, 0x1                  // scaleToBpe: accumulate d0 lower and *= bpe into Cin addr
v_cndmask_b32 v142, -1, v142, s[58:59]             // LDD clip if OOB. offset
/* (d1,vc1,d0,vc0)=(2,1,6,0) */
s_mov_b32 s54, 192                                 // coordOffset0 d0=6 vc0=0
_v_add_co_u32 v4, vcc, v0, s54                     // coord0.2: coord0 += d0*sg0*VW + vc0
v_cmp_lt_u32 s[54:55], v4, s[sgprSizeI]            // coord0 < size0
v_cmp_lt_u32 s[58:59], v1, s[sgprSizeJ]            // coord1 < size1
s_and_b64 s[58:59], s[54:55], s[58:59]             // in0 && in1
_v_add_lshl_u32 v144, v3, v4, 0x1                  // scaleToBpe: accumulate d0 lower and *= bpe into Cin addr
v_cndmask_b32 v144, -1, v144, s[58:59]             // LDD clip if OOB. offset
/* (d1,vc1,d0,vc0)=(2,2,0,0) */
_v_add_co_u32 v1, vcc, v1, 1                       // coord1.1: coord1Vgpr += d1*sg1*VW + vc1

/* Fix for UseInitialStridesCD, emitAddressSetupCode */
_v_add_u32 v2, v2, s[sgprStrideC1J]                // ROWINC- Move cinRowPtr to next row
_v_add_u32 v3, v3, s[sgprStrideD1J]                // Move coutRowPtr to next row
	;; [unrolled: 57-line block ×3, first 2 shown]
v_cmp_lt_u32 s[54:55], v0, s[sgprSizeI]            // coord0 < size0
v_cmp_lt_u32 s[58:59], v1, s[sgprSizeJ]            // coord1 < size1
s_and_b64 s[58:59], s[54:55], s[58:59]             // in0 && in1
_v_add_lshl_u32 v160, v3, v0, 0x1                  // scaleToBpe: accumulate d0 lower and *= bpe into Cin addr
v_cndmask_b32 v160, -1, v160, s[58:59]             // LDD clip if OOB. offset
/* (d1,vc1,d0,vc0)=(2,3,1,0) */
_v_add_co_u32 v4, vcc, v0, 32                      // coord0.1: coord0 += d0*sg0*VW + vc0
v_cmp_lt_u32 s[54:55], v4, s[sgprSizeI]            // coord0 < size0
v_cmp_lt_u32 s[58:59], v1, s[sgprSizeJ]            // coord1 < size1
s_and_b64 s[58:59], s[54:55], s[58:59]             // in0 && in1
_v_add_lshl_u32 v162, v3, v4, 0x1                  // scaleToBpe: accumulate d0 lower and *= bpe into Cin addr
v_cndmask_b32 v162, -1, v162, s[58:59]             // LDD clip if OOB. offset
/* (d1,vc1,d0,vc0)=(2,3,2,0) */
_v_add_co_u32 v4, vcc, v0, 64                      // coord0.1: coord0 += d0*sg0*VW + vc0
v_cmp_lt_u32 s[54:55], v4, s[sgprSizeI]            // coord0 < size0
v_cmp_lt_u32 s[58:59], v1, s[sgprSizeJ]            // coord1 < size1
s_and_b64 s[58:59], s[54:55], s[58:59]             // in0 && in1
_v_add_lshl_u32 v164, v3, v4, 0x1                  // scaleToBpe: accumulate d0 lower and *= bpe into Cin addr
v_cndmask_b32 v164, -1, v164, s[58:59]             // LDD clip if OOB. offset
/* (d1,vc1,d0,vc0)=(2,3,3,0) */
s_mov_b32 s54, 96                                  // coordOffset0 d0=3 vc0=0
_v_add_co_u32 v4, vcc, v0, s54                     // coord0.2: coord0 += d0*sg0*VW + vc0
v_cmp_lt_u32 s[54:55], v4, s[sgprSizeI]            // coord0 < size0
v_cmp_lt_u32 s[58:59], v1, s[sgprSizeJ]            // coord1 < size1
s_and_b64 s[58:59], s[54:55], s[58:59]             // in0 && in1
_v_add_lshl_u32 v166, v3, v4, 0x1                  // scaleToBpe: accumulate d0 lower and *= bpe into Cin addr
v_cndmask_b32 v166, -1, v166, s[58:59]             // LDD clip if OOB. offset
/* (d1,vc1,d0,vc0)=(2,3,4,0) */
s_mov_b32 s54, 128                                 // coordOffset0 d0=4 vc0=0
_v_add_co_u32 v4, vcc, v0, s54                     // coord0.2: coord0 += d0*sg0*VW + vc0
v_cmp_lt_u32 s[54:55], v4, s[sgprSizeI]            // coord0 < size0
v_cmp_lt_u32 s[58:59], v1, s[sgprSizeJ]            // coord1 < size1
s_and_b64 s[58:59], s[54:55], s[58:59]             // in0 && in1
_v_add_lshl_u32 v168, v3, v4, 0x1                  // scaleToBpe: accumulate d0 lower and *= bpe into Cin addr
v_cndmask_b32 v168, -1, v168, s[58:59]             // LDD clip if OOB. offset
/* (d1,vc1,d0,vc0)=(2,3,5,0) */
s_mov_b32 s54, 160                                 // coordOffset0 d0=5 vc0=0
_v_add_co_u32 v4, vcc, v0, s54                     // coord0.2: coord0 += d0*sg0*VW + vc0
v_cmp_lt_u32 s[54:55], v4, s[sgprSizeI]            // coord0 < size0
v_cmp_lt_u32 s[58:59], v1, s[sgprSizeJ]            // coord1 < size1
s_and_b64 s[58:59], s[54:55], s[58:59]             // in0 && in1
_v_add_lshl_u32 v170, v3, v4, 0x1                  // scaleToBpe: accumulate d0 lower and *= bpe into Cin addr
v_cndmask_b32 v170, -1, v170, s[58:59]             // LDD clip if OOB. offset
/* (d1,vc1,d0,vc0)=(2,3,6,0) */
s_mov_b32 s54, 192                                 // coordOffset0 d0=6 vc0=0
_v_add_co_u32 v4, vcc, v0, s54                     // coord0.2: coord0 += d0*sg0*VW + vc0
v_cmp_lt_u32 s[54:55], v4, s[sgprSizeI]            // coord0 < size0
v_cmp_lt_u32 s[58:59], v1, s[sgprSizeJ]            // coord1 < size1
s_and_b64 s[58:59], s[54:55], s[58:59]             // in0 && in1
_v_add_lshl_u32 v172, v3, v4, 0x1                  // scaleToBpe: accumulate d0 lower and *= bpe into Cin addr
v_cndmask_b32 v172, -1, v172, s[58:59]             // LDD clip if OOB. offset
/* (d1,vc1,d0,vc0)=(3,0,0,0) */
_v_add_co_u32 v1, vcc, v1, 29                      // coord1.1: coord1Vgpr += d1*sg1*VW + vc1

/* Fix for UseInitialStridesCD, emitAddressSetupCode */
s_mul_i32 s54, s[sgprStrideC1J], 29                // scale stride
_v_add_u32 v2, v2, s54                             // ROWINC- Move cinRowPtr to next row
s_mul_i32 s54, s[sgprStrideD1J], 29                // scale stride
_v_add_u32 v3, v3, s54                             // Move coutRowPtr to next row
v_cmp_lt_u32 s[54:55], v0, s[sgprSizeI]            // coord0 < size0
v_cmp_lt_u32 s[58:59], v1, s[sgprSizeJ]            // coord1 < size1
s_and_b64 s[58:59], s[54:55], s[58:59]             // in0 && in1
_v_add_lshl_u32 v174, v3, v0, 0x1                  // scaleToBpe: accumulate d0 lower and *= bpe into Cin addr
v_cndmask_b32 v174, -1, v174, s[58:59]             // LDD clip if OOB. offset
/* (d1,vc1,d0,vc0)=(3,0,1,0) */
_v_add_co_u32 v4, vcc, v0, 32                      // coord0.1: coord0 += d0*sg0*VW + vc0
v_cmp_lt_u32 s[54:55], v4, s[sgprSizeI]            // coord0 < size0
v_cmp_lt_u32 s[58:59], v1, s[sgprSizeJ]            // coord1 < size1
s_and_b64 s[58:59], s[54:55], s[58:59]             // in0 && in1
_v_add_lshl_u32 v176, v3, v4, 0x1                  // scaleToBpe: accumulate d0 lower and *= bpe into Cin addr
v_cndmask_b32 v176, -1, v176, s[58:59]             // LDD clip if OOB. offset
/* (d1,vc1,d0,vc0)=(3,0,2,0) */
_v_add_co_u32 v4, vcc, v0, 64                      // coord0.1: coord0 += d0*sg0*VW + vc0
v_cmp_lt_u32 s[54:55], v4, s[sgprSizeI]            // coord0 < size0
v_cmp_lt_u32 s[58:59], v1, s[sgprSizeJ]            // coord1 < size1
s_and_b64 s[58:59], s[54:55], s[58:59]             // in0 && in1
_v_add_lshl_u32 v178, v3, v4, 0x1                  // scaleToBpe: accumulate d0 lower and *= bpe into Cin addr
v_cndmask_b32 v178, -1, v178, s[58:59]             // LDD clip if OOB. offset
/* (d1,vc1,d0,vc0)=(3,0,3,0) */
s_mov_b32 s54, 96                                  // coordOffset0 d0=3 vc0=0
_v_add_co_u32 v4, vcc, v0, s54                     // coord0.2: coord0 += d0*sg0*VW + vc0
v_cmp_lt_u32 s[54:55], v4, s[sgprSizeI]            // coord0 < size0
v_cmp_lt_u32 s[58:59], v1, s[sgprSizeJ]            // coord1 < size1
s_and_b64 s[58:59], s[54:55], s[58:59]             // in0 && in1
_v_add_lshl_u32 v180, v3, v4, 0x1                  // scaleToBpe: accumulate d0 lower and *= bpe into Cin addr
v_cndmask_b32 v180, -1, v180, s[58:59]             // LDD clip if OOB. offset
/* (d1,vc1,d0,vc0)=(3,0,4,0) */
s_mov_b32 s54, 128                                 // coordOffset0 d0=4 vc0=0
_v_add_co_u32 v4, vcc, v0, s54                     // coord0.2: coord0 += d0*sg0*VW + vc0
v_cmp_lt_u32 s[54:55], v4, s[sgprSizeI]            // coord0 < size0
v_cmp_lt_u32 s[58:59], v1, s[sgprSizeJ]            // coord1 < size1
s_and_b64 s[58:59], s[54:55], s[58:59]             // in0 && in1
_v_add_lshl_u32 v182, v3, v4, 0x1                  // scaleToBpe: accumulate d0 lower and *= bpe into Cin addr
v_cndmask_b32 v182, -1, v182, s[58:59]             // LDD clip if OOB. offset
/* (d1,vc1,d0,vc0)=(3,0,5,0) */
s_mov_b32 s54, 160                                 // coordOffset0 d0=5 vc0=0
_v_add_co_u32 v4, vcc, v0, s54                     // coord0.2: coord0 += d0*sg0*VW + vc0
v_cmp_lt_u32 s[54:55], v4, s[sgprSizeI]            // coord0 < size0
v_cmp_lt_u32 s[58:59], v1, s[sgprSizeJ]            // coord1 < size1
s_and_b64 s[58:59], s[54:55], s[58:59]             // in0 && in1
_v_add_lshl_u32 v184, v3, v4, 0x1                  // scaleToBpe: accumulate d0 lower and *= bpe into Cin addr
v_cndmask_b32 v184, -1, v184, s[58:59]             // LDD clip if OOB. offset
/* (d1,vc1,d0,vc0)=(3,0,6,0) */
s_mov_b32 s54, 192                                 // coordOffset0 d0=6 vc0=0
_v_add_co_u32 v4, vcc, v0, s54                     // coord0.2: coord0 += d0*sg0*VW + vc0
v_cmp_lt_u32 s[54:55], v4, s[sgprSizeI]            // coord0 < size0
v_cmp_lt_u32 s[58:59], v1, s[sgprSizeJ]            // coord1 < size1
s_and_b64 s[58:59], s[54:55], s[58:59]             // in0 && in1
_v_add_lshl_u32 v186, v3, v4, 0x1                  // scaleToBpe: accumulate d0 lower and *= bpe into Cin addr
v_cndmask_b32 v186, -1, v186, s[58:59]             // LDD clip if OOB. offset
/* (d1,vc1,d0,vc0)=(3,1,0,0) */
_v_add_co_u32 v1, vcc, v1, 1                       // coord1.1: coord1Vgpr += d1*sg1*VW + vc1

/* Fix for UseInitialStridesCD, emitAddressSetupCode */
_v_add_u32 v2, v2, s[sgprStrideC1J]                // ROWINC- Move cinRowPtr to next row
_v_add_u32 v3, v3, s[sgprStrideD1J]                // Move coutRowPtr to next row
v_cmp_lt_u32 s[54:55], v0, s[sgprSizeI]            // coord0 < size0
v_cmp_lt_u32 s[58:59], v1, s[sgprSizeJ]            // coord1 < size1
s_and_b64 s[58:59], s[54:55], s[58:59]             // in0 && in1
_v_add_lshl_u32 v188, v3, v0, 0x1                  // scaleToBpe: accumulate d0 lower and *= bpe into Cin addr
v_cndmask_b32 v188, -1, v188, s[58:59]             // LDD clip if OOB. offset
/* (d1,vc1,d0,vc0)=(3,1,1,0) */
_v_add_co_u32 v4, vcc, v0, 32                      // coord0.1: coord0 += d0*sg0*VW + vc0
v_cmp_lt_u32 s[54:55], v4, s[sgprSizeI]            // coord0 < size0
v_cmp_lt_u32 s[58:59], v1, s[sgprSizeJ]            // coord1 < size1
s_and_b64 s[58:59], s[54:55], s[58:59]             // in0 && in1
_v_add_lshl_u32 v190, v3, v4, 0x1                  // scaleToBpe: accumulate d0 lower and *= bpe into Cin addr
v_cndmask_b32 v190, -1, v190, s[58:59]             // LDD clip if OOB. offset
/* (d1,vc1,d0,vc0)=(3,1,2,0) */
_v_add_co_u32 v4, vcc, v0, 64                      // coord0.1: coord0 += d0*sg0*VW + vc0
v_cmp_lt_u32 s[54:55], v4, s[sgprSizeI]            // coord0 < size0
v_cmp_lt_u32 s[58:59], v1, s[sgprSizeJ]            // coord1 < size1
s_and_b64 s[58:59], s[54:55], s[58:59]             // in0 && in1
_v_add_lshl_u32 v192, v3, v4, 0x1                  // scaleToBpe: accumulate d0 lower and *= bpe into Cin addr
v_cndmask_b32 v192, -1, v192, s[58:59]             // LDD clip if OOB. offset
/* (d1,vc1,d0,vc0)=(3,1,3,0) */
s_mov_b32 s54, 96                                  // coordOffset0 d0=3 vc0=0
_v_add_co_u32 v4, vcc, v0, s54                     // coord0.2: coord0 += d0*sg0*VW + vc0
v_cmp_lt_u32 s[54:55], v4, s[sgprSizeI]            // coord0 < size0
v_cmp_lt_u32 s[58:59], v1, s[sgprSizeJ]            // coord1 < size1
s_and_b64 s[58:59], s[54:55], s[58:59]             // in0 && in1
_v_add_lshl_u32 v194, v3, v4, 0x1                  // scaleToBpe: accumulate d0 lower and *= bpe into Cin addr
v_cndmask_b32 v194, -1, v194, s[58:59]             // LDD clip if OOB. offset
/* (d1,vc1,d0,vc0)=(3,1,4,0) */
s_mov_b32 s54, 128                                 // coordOffset0 d0=4 vc0=0
_v_add_co_u32 v4, vcc, v0, s54                     // coord0.2: coord0 += d0*sg0*VW + vc0
v_cmp_lt_u32 s[54:55], v4, s[sgprSizeI]            // coord0 < size0
v_cmp_lt_u32 s[58:59], v1, s[sgprSizeJ]            // coord1 < size1
s_and_b64 s[58:59], s[54:55], s[58:59]             // in0 && in1
_v_add_lshl_u32 v196, v3, v4, 0x1                  // scaleToBpe: accumulate d0 lower and *= bpe into Cin addr
v_cndmask_b32 v196, -1, v196, s[58:59]             // LDD clip if OOB. offset
/* (d1,vc1,d0,vc0)=(3,1,5,0) */
s_mov_b32 s54, 160                                 // coordOffset0 d0=5 vc0=0
_v_add_co_u32 v4, vcc, v0, s54                     // coord0.2: coord0 += d0*sg0*VW + vc0
v_cmp_lt_u32 s[54:55], v4, s[sgprSizeI]            // coord0 < size0
v_cmp_lt_u32 s[58:59], v1, s[sgprSizeJ]            // coord1 < size1
s_and_b64 s[58:59], s[54:55], s[58:59]             // in0 && in1
_v_add_lshl_u32 v198, v3, v4, 0x1                  // scaleToBpe: accumulate d0 lower and *= bpe into Cin addr
v_cndmask_b32 v198, -1, v198, s[58:59]             // LDD clip if OOB. offset
/* (d1,vc1,d0,vc0)=(3,1,6,0) */
s_mov_b32 s54, 192                                 // coordOffset0 d0=6 vc0=0
_v_add_co_u32 v4, vcc, v0, s54                     // coord0.2: coord0 += d0*sg0*VW + vc0
v_cmp_lt_u32 s[54:55], v4, s[sgprSizeI]            // coord0 < size0
v_cmp_lt_u32 s[58:59], v1, s[sgprSizeJ]            // coord1 < size1
s_and_b64 s[58:59], s[54:55], s[58:59]             // in0 && in1
_v_add_lshl_u32 v200, v3, v4, 0x1                  // scaleToBpe: accumulate d0 lower and *= bpe into Cin addr
v_cndmask_b32 v200, -1, v200, s[58:59]             // LDD clip if OOB. offset
/* (d1,vc1,d0,vc0)=(3,2,0,0) */
_v_add_co_u32 v1, vcc, v1, 1                       // coord1.1: coord1Vgpr += d1*sg1*VW + vc1

/* Fix for UseInitialStridesCD, emitAddressSetupCode */
_v_add_u32 v2, v2, s[sgprStrideC1J]                // ROWINC- Move cinRowPtr to next row
_v_add_u32 v3, v3, s[sgprStrideD1J]                // Move coutRowPtr to next row
	;; [unrolled: 57-line block ×3, first 2 shown]
v_cmp_lt_u32 s[54:55], v0, s[sgprSizeI]            // coord0 < size0
v_cmp_lt_u32 s[58:59], v1, s[sgprSizeJ]            // coord1 < size1
s_and_b64 s[58:59], s[54:55], s[58:59]             // in0 && in1
_v_add_lshl_u32 v216, v3, v0, 0x1                  // scaleToBpe: accumulate d0 lower and *= bpe into Cin addr
v_cndmask_b32 v216, -1, v216, s[58:59]             // LDD clip if OOB. offset
/* (d1,vc1,d0,vc0)=(3,3,1,0) */
_v_add_co_u32 v4, vcc, v0, 32                      // coord0.1: coord0 += d0*sg0*VW + vc0
v_cmp_lt_u32 s[54:55], v4, s[sgprSizeI]            // coord0 < size0
v_cmp_lt_u32 s[58:59], v1, s[sgprSizeJ]            // coord1 < size1
s_and_b64 s[58:59], s[54:55], s[58:59]             // in0 && in1
_v_add_lshl_u32 v218, v3, v4, 0x1                  // scaleToBpe: accumulate d0 lower and *= bpe into Cin addr
v_cndmask_b32 v218, -1, v218, s[58:59]             // LDD clip if OOB. offset
/* (d1,vc1,d0,vc0)=(3,3,2,0) */
_v_add_co_u32 v4, vcc, v0, 64                      // coord0.1: coord0 += d0*sg0*VW + vc0
v_cmp_lt_u32 s[54:55], v4, s[sgprSizeI]            // coord0 < size0
v_cmp_lt_u32 s[58:59], v1, s[sgprSizeJ]            // coord1 < size1
s_and_b64 s[58:59], s[54:55], s[58:59]             // in0 && in1
_v_add_lshl_u32 v220, v3, v4, 0x1                  // scaleToBpe: accumulate d0 lower and *= bpe into Cin addr
v_cndmask_b32 v220, -1, v220, s[58:59]             // LDD clip if OOB. offset
/* (d1,vc1,d0,vc0)=(3,3,3,0) */
s_mov_b32 s54, 96                                  // coordOffset0 d0=3 vc0=0
_v_add_co_u32 v4, vcc, v0, s54                     // coord0.2: coord0 += d0*sg0*VW + vc0
v_cmp_lt_u32 s[54:55], v4, s[sgprSizeI]            // coord0 < size0
v_cmp_lt_u32 s[58:59], v1, s[sgprSizeJ]            // coord1 < size1
s_and_b64 s[58:59], s[54:55], s[58:59]             // in0 && in1
_v_add_lshl_u32 v222, v3, v4, 0x1                  // scaleToBpe: accumulate d0 lower and *= bpe into Cin addr
v_cndmask_b32 v222, -1, v222, s[58:59]             // LDD clip if OOB. offset
/* (d1,vc1,d0,vc0)=(3,3,4,0) */
s_mov_b32 s54, 128                                 // coordOffset0 d0=4 vc0=0
_v_add_co_u32 v4, vcc, v0, s54                     // coord0.2: coord0 += d0*sg0*VW + vc0
v_cmp_lt_u32 s[54:55], v4, s[sgprSizeI]            // coord0 < size0
v_cmp_lt_u32 s[58:59], v1, s[sgprSizeJ]            // coord1 < size1
s_and_b64 s[58:59], s[54:55], s[58:59]             // in0 && in1
_v_add_lshl_u32 v224, v3, v4, 0x1                  // scaleToBpe: accumulate d0 lower and *= bpe into Cin addr
v_cndmask_b32 v224, -1, v224, s[58:59]             // LDD clip if OOB. offset
/* (d1,vc1,d0,vc0)=(3,3,5,0) */
s_mov_b32 s54, 160                                 // coordOffset0 d0=5 vc0=0
	;; [unrolled: 8-line block ×3, first 2 shown]
_v_add_co_u32 v4, vcc, v0, s54                     // coord0.2: coord0 += d0*sg0*VW + vc0
v_cmp_lt_u32 s[54:55], v4, s[sgprSizeI]            // coord0 < size0
v_cmp_lt_u32 s[58:59], v1, s[sgprSizeJ]            // coord1 < size1
s_and_b64 s[58:59], s[54:55], s[58:59]             // in0 && in1
_v_add_lshl_u32 v228, v3, v4, 0x1                  // scaleToBpe: accumulate d0 lower and *= bpe into Cin addr
v_cndmask_b32 v228, -1, v228, s[58:59]             // LDD clip if OOB. offset
/* (d1,vc1,d0,vc0)=(4,0,0,0) */
_v_add_co_u32 v1, vcc, v1, 29                      // coord1.1: coord1Vgpr += d1*sg1*VW + vc1

/* Fix for UseInitialStridesCD, emitAddressSetupCode */
s_mul_i32 s54, s[sgprStrideC1J], 29                // scale stride
_v_add_u32 v2, v2, s54                             // ROWINC- Move cinRowPtr to next row
s_mul_i32 s54, s[sgprStrideD1J], 29                // scale stride
_v_add_u32 v3, v3, s54                             // Move coutRowPtr to next row
v_cmp_lt_u32 s[54:55], v0, s[sgprSizeI]            // coord0 < size0
v_cmp_lt_u32 s[58:59], v1, s[sgprSizeJ]            // coord1 < size1
s_and_b64 s[58:59], s[54:55], s[58:59]             // in0 && in1
_v_add_lshl_u32 v230, v3, v0, 0x1                  // scaleToBpe: accumulate d0 lower and *= bpe into Cin addr
v_cndmask_b32 v230, -1, v230, s[58:59]             // LDD clip if OOB. offset
/* (d1,vc1,d0,vc0)=(4,0,1,0) */
_v_add_co_u32 v4, vcc, v0, 32                      // coord0.1: coord0 += d0*sg0*VW + vc0
v_cmp_lt_u32 s[54:55], v4, s[sgprSizeI]            // coord0 < size0
v_cmp_lt_u32 s[58:59], v1, s[sgprSizeJ]            // coord1 < size1
s_and_b64 s[58:59], s[54:55], s[58:59]             // in0 && in1
_v_add_lshl_u32 v232, v3, v4, 0x1                  // scaleToBpe: accumulate d0 lower and *= bpe into Cin addr
v_cndmask_b32 v232, -1, v232, s[58:59]             // LDD clip if OOB. offset
/* (d1,vc1,d0,vc0)=(4,0,2,0) */
_v_add_co_u32 v4, vcc, v0, 64                      // coord0.1: coord0 += d0*sg0*VW + vc0
v_cmp_lt_u32 s[54:55], v4, s[sgprSizeI]            // coord0 < size0
v_cmp_lt_u32 s[58:59], v1, s[sgprSizeJ]            // coord1 < size1
s_and_b64 s[58:59], s[54:55], s[58:59]             // in0 && in1
_v_add_lshl_u32 v234, v3, v4, 0x1                  // scaleToBpe: accumulate d0 lower and *= bpe into Cin addr
v_cndmask_b32 v234, -1, v234, s[58:59]             // LDD clip if OOB. offset
/* (d1,vc1,d0,vc0)=(4,0,3,0) */
s_mov_b32 s54, 96                                  // coordOffset0 d0=3 vc0=0
_v_add_co_u32 v4, vcc, v0, s54                     // coord0.2: coord0 += d0*sg0*VW + vc0
v_cmp_lt_u32 s[54:55], v4, s[sgprSizeI]            // coord0 < size0
v_cmp_lt_u32 s[58:59], v1, s[sgprSizeJ]            // coord1 < size1
s_and_b64 s[58:59], s[54:55], s[58:59]             // in0 && in1
_v_add_lshl_u32 v236, v3, v4, 0x1                  // scaleToBpe: accumulate d0 lower and *= bpe into Cin addr
v_cndmask_b32 v236, -1, v236, s[58:59]             // LDD clip if OOB. offset
/* (d1,vc1,d0,vc0)=(4,0,4,0) */
s_mov_b32 s54, 128                                 // coordOffset0 d0=4 vc0=0
_v_add_co_u32 v4, vcc, v0, s54                     // coord0.2: coord0 += d0*sg0*VW + vc0
v_cmp_lt_u32 s[54:55], v4, s[sgprSizeI]            // coord0 < size0
v_cmp_lt_u32 s[58:59], v1, s[sgprSizeJ]            // coord1 < size1
s_and_b64 s[58:59], s[54:55], s[58:59]             // in0 && in1
_v_add_lshl_u32 v238, v3, v4, 0x1                  // scaleToBpe: accumulate d0 lower and *= bpe into Cin addr
v_cndmask_b32 v238, -1, v238, s[58:59]             // LDD clip if OOB. offset
/* (d1,vc1,d0,vc0)=(4,0,5,0) */
s_mov_b32 s54, 160                                 // coordOffset0 d0=5 vc0=0
_v_add_co_u32 v4, vcc, v0, s54                     // coord0.2: coord0 += d0*sg0*VW + vc0
v_cmp_lt_u32 s[54:55], v4, s[sgprSizeI]            // coord0 < size0
v_cmp_lt_u32 s[58:59], v1, s[sgprSizeJ]            // coord1 < size1
s_and_b64 s[58:59], s[54:55], s[58:59]             // in0 && in1
_v_add_lshl_u32 v240, v3, v4, 0x1                  // scaleToBpe: accumulate d0 lower and *= bpe into Cin addr
v_cndmask_b32 v240, -1, v240, s[58:59]             // LDD clip if OOB. offset
/* (d1,vc1,d0,vc0)=(4,0,6,0) */
s_mov_b32 s54, 192                                 // coordOffset0 d0=6 vc0=0
_v_add_co_u32 v4, vcc, v0, s54                     // coord0.2: coord0 += d0*sg0*VW + vc0
v_cmp_lt_u32 s[54:55], v4, s[sgprSizeI]            // coord0 < size0
v_cmp_lt_u32 s[58:59], v1, s[sgprSizeJ]            // coord1 < size1
s_and_b64 s[58:59], s[54:55], s[58:59]             // in0 && in1
_v_add_lshl_u32 v245, v3, v4, 0x1                  // scaleToBpe: accumulate d0 lower and *= bpe into Cin addr
v_cndmask_b32 v245, -1, v245, s[58:59]             // LDD clip if OOB. offset
/* (d1,vc1,d0,vc0)=(4,1,0,0) */
_v_add_co_u32 v1, vcc, v1, 1                       // coord1.1: coord1Vgpr += d1*sg1*VW + vc1

/* Fix for UseInitialStridesCD, emitAddressSetupCode */
_v_add_u32 v2, v2, s[sgprStrideC1J]                // ROWINC- Move cinRowPtr to next row
_v_add_u32 v3, v3, s[sgprStrideD1J]                // Move coutRowPtr to next row
v_cmp_lt_u32 s[54:55], v0, s[sgprSizeI]            // coord0 < size0
v_cmp_lt_u32 s[58:59], v1, s[sgprSizeJ]            // coord1 < size1
s_and_b64 s[58:59], s[54:55], s[58:59]             // in0 && in1
_v_add_lshl_u32 v247, v3, v0, 0x1                  // scaleToBpe: accumulate d0 lower and *= bpe into Cin addr
v_cndmask_b32 v247, -1, v247, s[58:59]             // LDD clip if OOB. offset
/* (d1,vc1,d0,vc0)=(4,1,1,0) */
_v_add_co_u32 v4, vcc, v0, 32                      // coord0.1: coord0 += d0*sg0*VW + vc0
v_cmp_lt_u32 s[54:55], v4, s[sgprSizeI]            // coord0 < size0
v_cmp_lt_u32 s[58:59], v1, s[sgprSizeJ]            // coord1 < size1
s_and_b64 s[58:59], s[54:55], s[58:59]             // in0 && in1
_v_add_lshl_u32 v249, v3, v4, 0x1                  // scaleToBpe: accumulate d0 lower and *= bpe into Cin addr
v_cndmask_b32 v249, -1, v249, s[58:59]             // LDD clip if OOB. offset
/* (d1,vc1,d0,vc0)=(4,1,2,0) */
_v_add_co_u32 v4, vcc, v0, 64                      // coord0.1: coord0 += d0*sg0*VW + vc0
v_cmp_lt_u32 s[54:55], v4, s[sgprSizeI]            // coord0 < size0
v_cmp_lt_u32 s[58:59], v1, s[sgprSizeJ]            // coord1 < size1
s_and_b64 s[58:59], s[54:55], s[58:59]             // in0 && in1
_v_add_lshl_u32 v251, v3, v4, 0x1                  // scaleToBpe: accumulate d0 lower and *= bpe into Cin addr
v_cndmask_b32 v251, -1, v251, s[58:59]             // LDD clip if OOB. offset
v_accvgpr_read_b32 v[vgprValuC+7], acc0 // copy acc to vreg[0]
v_accvgpr_read_b32 v[vgprValuC+9], acc4 // copy acc to vreg[1]
v_accvgpr_read_b32 v[vgprValuC+11], acc8 // copy acc to vreg[2]
v_accvgpr_read_b32 v[vgprValuC+13], acc12 // copy acc to vreg[3]
v_accvgpr_read_b32 v[vgprValuC+15], acc16 // copy acc to vreg[4]
v_accvgpr_read_b32 v[vgprValuC+17], acc20 // copy acc to vreg[5]
v_accvgpr_read_b32 v[vgprValuC+19], acc24 // copy acc to vreg[6]
v_accvgpr_read_b32 v[vgprValuC+21], acc1 // copy acc to vreg[7]
v_accvgpr_read_b32 v[vgprValuC+23], acc5 // copy acc to vreg[8]
v_accvgpr_read_b32 v[vgprValuC+25], acc9 // copy acc to vreg[9]
v_accvgpr_read_b32 v[vgprValuC+27], acc13 // copy acc to vreg[10]
v_accvgpr_read_b32 v[vgprValuC+29], acc17 // copy acc to vreg[11]
v_accvgpr_read_b32 v[vgprValuC+31], acc21 // copy acc to vreg[12]
v_accvgpr_read_b32 v[vgprValuC+33], acc25 // copy acc to vreg[13]
v_accvgpr_read_b32 v[vgprValuC+35], acc2 // copy acc to vreg[14]
v_accvgpr_read_b32 v[vgprValuC+37], acc6 // copy acc to vreg[15]
v_accvgpr_read_b32 v[vgprValuC+39], acc10 // copy acc to vreg[16]
v_accvgpr_read_b32 v[vgprValuC+41], acc14 // copy acc to vreg[17]
v_accvgpr_read_b32 v[vgprValuC+43], acc18 // copy acc to vreg[18]
v_accvgpr_read_b32 v[vgprValuC+45], acc22 // copy acc to vreg[19]
v_accvgpr_read_b32 v[vgprValuC+47], acc26 // copy acc to vreg[20]
v_accvgpr_read_b32 v[vgprValuC+49], acc3 // copy acc to vreg[21]
v_accvgpr_read_b32 v[vgprValuC+51], acc7 // copy acc to vreg[22]
v_accvgpr_read_b32 v[vgprValuC+53], acc11 // copy acc to vreg[23]
v_accvgpr_read_b32 v[vgprValuC+55], acc15 // copy acc to vreg[24]
v_accvgpr_read_b32 v[vgprValuC+57], acc19 // copy acc to vreg[25]
v_accvgpr_read_b32 v[vgprValuC+59], acc23 // copy acc to vreg[26]
v_accvgpr_read_b32 v[vgprValuC+61], acc27 // copy acc to vreg[27]
v_accvgpr_read_b32 v[vgprValuC+63], acc28 // copy acc to vreg[28]
v_accvgpr_read_b32 v[vgprValuC+65], acc32 // copy acc to vreg[29]
v_accvgpr_read_b32 v[vgprValuC+67], acc36 // copy acc to vreg[30]
v_accvgpr_read_b32 v[vgprValuC+69], acc40 // copy acc to vreg[31]
v_accvgpr_read_b32 v[vgprValuC+71], acc44 // copy acc to vreg[32]
v_accvgpr_read_b32 v[vgprValuC+73], acc48 // copy acc to vreg[33]
v_accvgpr_read_b32 v[vgprValuC+75], acc52 // copy acc to vreg[34]
v_accvgpr_read_b32 v[vgprValuC+77], acc29 // copy acc to vreg[35]
v_accvgpr_read_b32 v[vgprValuC+79], acc33 // copy acc to vreg[36]
v_accvgpr_read_b32 v[vgprValuC+81], acc37 // copy acc to vreg[37]
v_accvgpr_read_b32 v[vgprValuC+83], acc41 // copy acc to vreg[38]
v_accvgpr_read_b32 v[vgprValuC+85], acc45 // copy acc to vreg[39]
v_accvgpr_read_b32 v[vgprValuC+87], acc49 // copy acc to vreg[40]
v_accvgpr_read_b32 v[vgprValuC+89], acc53 // copy acc to vreg[41]
v_accvgpr_read_b32 v[vgprValuC+91], acc30 // copy acc to vreg[42]
v_accvgpr_read_b32 v[vgprValuC+93], acc34 // copy acc to vreg[43]
v_accvgpr_read_b32 v[vgprValuC+95], acc38 // copy acc to vreg[44]
v_accvgpr_read_b32 v[vgprValuC+97], acc42 // copy acc to vreg[45]
v_accvgpr_read_b32 v[vgprValuC+99], acc46 // copy acc to vreg[46]
v_accvgpr_read_b32 v[vgprValuC+101], acc50 // copy acc to vreg[47]
v_accvgpr_read_b32 v[vgprValuC+103], acc54 // copy acc to vreg[48]
v_accvgpr_read_b32 v[vgprValuC+105], acc31 // copy acc to vreg[49]
v_accvgpr_read_b32 v[vgprValuC+107], acc35 // copy acc to vreg[50]
v_accvgpr_read_b32 v[vgprValuC+109], acc39 // copy acc to vreg[51]
v_accvgpr_read_b32 v[vgprValuC+111], acc43 // copy acc to vreg[52]
v_accvgpr_read_b32 v[vgprValuC+113], acc47 // copy acc to vreg[53]
v_accvgpr_read_b32 v[vgprValuC+115], acc51 // copy acc to vreg[54]
v_accvgpr_read_b32 v[vgprValuC+117], acc55 // copy acc to vreg[55]
v_accvgpr_read_b32 v[vgprValuC+119], acc56 // copy acc to vreg[56]
v_accvgpr_read_b32 v[vgprValuC+121], acc60 // copy acc to vreg[57]
v_accvgpr_read_b32 v[vgprValuC+123], acc64 // copy acc to vreg[58]
v_accvgpr_read_b32 v[vgprValuC+125], acc68 // copy acc to vreg[59]
v_accvgpr_read_b32 v[vgprValuC+127], acc72 // copy acc to vreg[60]
v_accvgpr_read_b32 v[vgprValuC+129], acc76 // copy acc to vreg[61]
v_accvgpr_read_b32 v[vgprValuC+131], acc80 // copy acc to vreg[62]
v_accvgpr_read_b32 v[vgprValuC+133], acc57 // copy acc to vreg[63]
v_accvgpr_read_b32 v[vgprValuC+135], acc61 // copy acc to vreg[64]
v_accvgpr_read_b32 v[vgprValuC+137], acc65 // copy acc to vreg[65]
v_accvgpr_read_b32 v[vgprValuC+139], acc69 // copy acc to vreg[66]
v_accvgpr_read_b32 v[vgprValuC+141], acc73 // copy acc to vreg[67]
v_accvgpr_read_b32 v[vgprValuC+143], acc77 // copy acc to vreg[68]
v_accvgpr_read_b32 v[vgprValuC+145], acc81 // copy acc to vreg[69]
v_accvgpr_read_b32 v[vgprValuC+147], acc58 // copy acc to vreg[70]
v_accvgpr_read_b32 v[vgprValuC+149], acc62 // copy acc to vreg[71]
v_accvgpr_read_b32 v[vgprValuC+151], acc66 // copy acc to vreg[72]
v_accvgpr_read_b32 v[vgprValuC+153], acc70 // copy acc to vreg[73]
v_accvgpr_read_b32 v[vgprValuC+155], acc74 // copy acc to vreg[74]
v_accvgpr_read_b32 v[vgprValuC+157], acc78 // copy acc to vreg[75]
v_accvgpr_read_b32 v[vgprValuC+159], acc82 // copy acc to vreg[76]
v_accvgpr_read_b32 v[vgprValuC+161], acc59 // copy acc to vreg[77]
v_accvgpr_read_b32 v[vgprValuC+163], acc63 // copy acc to vreg[78]
v_accvgpr_read_b32 v[vgprValuC+165], acc67 // copy acc to vreg[79]
v_accvgpr_read_b32 v[vgprValuC+167], acc71 // copy acc to vreg[80]
v_accvgpr_read_b32 v[vgprValuC+169], acc75 // copy acc to vreg[81]
v_accvgpr_read_b32 v[vgprValuC+171], acc79 // copy acc to vreg[82]
v_accvgpr_read_b32 v[vgprValuC+173], acc83 // copy acc to vreg[83]
v_accvgpr_read_b32 v[vgprValuC+175], acc84 // copy acc to vreg[84]
v_accvgpr_read_b32 v[vgprValuC+177], acc88 // copy acc to vreg[85]
v_accvgpr_read_b32 v[vgprValuC+179], acc92 // copy acc to vreg[86]
v_accvgpr_read_b32 v[vgprValuC+181], acc96 // copy acc to vreg[87]
v_accvgpr_read_b32 v[vgprValuC+183], acc100 // copy acc to vreg[88]
v_accvgpr_read_b32 v[vgprValuC+185], acc104 // copy acc to vreg[89]
v_accvgpr_read_b32 v[vgprValuC+187], acc108 // copy acc to vreg[90]
v_accvgpr_read_b32 v[vgprValuC+189], acc85 // copy acc to vreg[91]
v_accvgpr_read_b32 v[vgprValuC+191], acc89 // copy acc to vreg[92]
v_accvgpr_read_b32 v[vgprValuC+193], acc93 // copy acc to vreg[93]
v_accvgpr_read_b32 v[vgprValuC+195], acc97 // copy acc to vreg[94]
v_accvgpr_read_b32 v[vgprValuC+197], acc101 // copy acc to vreg[95]
v_accvgpr_read_b32 v[vgprValuC+199], acc105 // copy acc to vreg[96]
v_accvgpr_read_b32 v[vgprValuC+201], acc109 // copy acc to vreg[97]
v_accvgpr_read_b32 v[vgprValuC+203], acc86 // copy acc to vreg[98]
v_accvgpr_read_b32 v[vgprValuC+205], acc90 // copy acc to vreg[99]
v_accvgpr_read_b32 v[vgprValuC+207], acc94 // copy acc to vreg[100]
v_accvgpr_read_b32 v[vgprValuC+209], acc98 // copy acc to vreg[101]
v_accvgpr_read_b32 v[vgprValuC+211], acc102 // copy acc to vreg[102]
v_accvgpr_read_b32 v[vgprValuC+213], acc106 // copy acc to vreg[103]
v_accvgpr_read_b32 v[vgprValuC+215], acc110 // copy acc to vreg[104]
v_accvgpr_read_b32 v[vgprValuC+217], acc87 // copy acc to vreg[105]
v_accvgpr_read_b32 v[vgprValuC+219], acc91 // copy acc to vreg[106]
v_accvgpr_read_b32 v[vgprValuC+221], acc95 // copy acc to vreg[107]
v_accvgpr_read_b32 v[vgprValuC+223], acc99 // copy acc to vreg[108]
v_accvgpr_read_b32 v[vgprValuC+225], acc103 // copy acc to vreg[109]
v_accvgpr_read_b32 v[vgprValuC+227], acc107 // copy acc to vreg[110]
v_accvgpr_read_b32 v[vgprValuC+229], acc111 // copy acc to vreg[111]
v_accvgpr_read_b32 v[vgprValuC+231], acc112 // copy acc to vreg[112]
v_accvgpr_read_b32 v[vgprValuC+233], acc116 // copy acc to vreg[113]
v_accvgpr_read_b32 v[vgprValuC+235], acc120 // copy acc to vreg[114]
v_accvgpr_read_b32 v[vgprValuC+237], acc124 // copy acc to vreg[115]
v_accvgpr_read_b32 v[vgprValuC+239], acc128 // copy acc to vreg[116]
v_accvgpr_read_b32 v[vgprValuC+241], acc132 // copy acc to vreg[117]
v_accvgpr_read_b32 v[vgprValuC+246], acc136 // copy acc to vreg[118]
v_accvgpr_read_b32 v[vgprValuC+248], acc113 // copy acc to vreg[119]
v_accvgpr_read_b32 v[vgprValuC+250], acc117 // copy acc to vreg[120]
v_accvgpr_read_b32 v[vgprValuC+252], acc121 // copy acc to vreg[121]
s_nop 1                                            // 2 wait states required before reading vgpr

/* rC *= alpha batchElements=[(0, 0, 0, 0), (0, 1, 0, 0), (0, 2, 0, 0), (0, 3, 0, 0), (0, 4, 0, 0), (0, 5, 0, 0), (0, 6, 0, 0), (0, 0, 1, 0), (0, 1, 1, 0), (0, 2, 1, 0), (0, 3, 1, 0), (0, 4, 1, 0), (0, 5, 1, 0), (0, 6, 1, 0), (0, 0, 2, 0), (0, 1, 2, 0), (0, 2, 2, 0), (0, 3, 2, 0), (0, 4, 2, 0), (0, 5, 2, 0), (0, 6, 2, 0), (0, 0, 3, 0), (0, 1, 3, 0), (0, 2, 3, 0), (0, 3, 3, 0), (0, 4, 3, 0), (0, 5, 3, 0), (0, 6, 3, 0), (1, 0, 0, 0), (1, 1, 0, 0), (1, 2, 0, 0), (1, 3, 0, 0), (1, 4, 0, 0), (1, 5, 0, 0), (1, 6, 0, 0), (1, 0, 1, 0), (1, 1, 1, 0), (1, 2, 1, 0), (1, 3, 1, 0), (1, 4, 1, 0), (1, 5, 1, 0), (1, 6, 1, 0), (1, 0, 2, 0), (1, 1, 2, 0), (1, 2, 2, 0), (1, 3, 2, 0), (1, 4, 2, 0), (1, 5, 2, 0), (1, 6, 2, 0), (1, 0, 3, 0), (1, 1, 3, 0), (1, 2, 3, 0), (1, 3, 3, 0), (1, 4, 3, 0), (1, 5, 3, 0), (1, 6, 3, 0), (2, 0, 0, 0), (2, 1, 0, 0), (2, 2, 0, 0), (2, 3, 0, 0), (2, 4, 0, 0), (2, 5, 0, 0), (2, 6, 0, 0), (2, 0, 1, 0), (2, 1, 1, 0), (2, 2, 1, 0), (2, 3, 1, 0), (2, 4, 1, 0), (2, 5, 1, 0), (2, 6, 1, 0), (2, 0, 2, 0), (2, 1, 2, 0), (2, 2, 2, 0), (2, 3, 2, 0), (2, 4, 2, 0), (2, 5, 2, 0), (2, 6, 2, 0), (2, 0, 3, 0), (2, 1, 3, 0), (2, 2, 3, 0), (2, 3, 3, 0), (2, 4, 3, 0), (2, 5, 3, 0), (2, 6, 3, 0), (3, 0, 0, 0), (3, 1, 0, 0), (3, 2, 0, 0), (3, 3, 0, 0), (3, 4, 0, 0), (3, 5, 0, 0), (3, 6, 0, 0), (3, 0, 1, 0), (3, 1, 1, 0), (3, 2, 1, 0), (3, 3, 1, 0), (3, 4, 1, 0), (3, 5, 1, 0), (3, 6, 1, 0), (3, 0, 2, 0), (3, 1, 2, 0), (3, 2, 2, 0), (3, 3, 2, 0), (3, 4, 2, 0), (3, 5, 2, 0), (3, 6, 2, 0), (3, 0, 3, 0), (3, 1, 3, 0), (3, 2, 3, 0), (3, 3, 3, 0), (3, 4, 3, 0), (3, 5, 3, 0), (3, 6, 3, 0), (4, 0, 0, 0), (4, 1, 0, 0), (4, 2, 0, 0), (4, 3, 0, 0), (4, 4, 0, 0), (4, 5, 0, 0), (4, 6, 0, 0), (4, 0, 1, 0), (4, 1, 1, 0), (4, 2, 1, 0)] */
v_mul_f32 v[vgprValuC+7], s[sgprAlpha], v[vgprValuC+7] // *= alpha
v_mul_f32 v[vgprValuC+9], s[sgprAlpha], v[vgprValuC+9] // *= alpha
	;; [unrolled: 1-line block ×122, first 2 shown]

/* apply mask, calc new C and issue writes */
v_cvt_f16_f32 v[vgprValuC+7], v[vgprValuC+7]       // convert C to fp16
_buffer_store_b16 v7, v6, s[sgprSrdD:sgprSrdD+3], 0, offen, offset:0,  sc0 sc1 // store D
v_cvt_f16_f32 v[vgprValuC+9], v[vgprValuC+9]       // convert C to fp16
_buffer_store_b16 v9, v8, s[sgprSrdD:sgprSrdD+3], 0, offen, offset:0,  sc0 sc1 // store D
v_cvt_f16_f32 v[vgprValuC+11], v[vgprValuC+11]     // convert C to fp16
_buffer_store_b16 v11, v10, s[sgprSrdD:sgprSrdD+3], 0, offen, offset:0,  sc0 sc1 // store D
v_cvt_f16_f32 v[vgprValuC+13], v[vgprValuC+13]     // convert C to fp16
	;; [unrolled: 2-line block ×45, first 2 shown]
_buffer_store_b16 v99, v98, s[sgprSrdD:sgprSrdD+3], 0, offen, offset:0,  sc0 sc1 // store D
v_cvt_f16_f32 v[vgprValuC+101], v[vgprValuC+101]   // convert C to fp16
_buffer_store_b16 v101, v100, s[sgprSrdD:sgprSrdD+3], 0, offen, offset:0,  sc0 sc1 // store D
v_cvt_f16_f32 v[vgprValuC+103], v[vgprValuC+103]   // convert C to fp16
_buffer_store_b16 v103, v102, s[sgprSrdD:sgprSrdD+3], 0, offen, offset:0,  sc0 sc1 // store D
v_cvt_f16_f32 v[vgprValuC+105], v[vgprValuC+105]   // convert C to fp16
_buffer_store_b16 v105, v104, s[sgprSrdD:sgprSrdD+3], 0, offen, offset:0,  sc0 sc1 // store D
v_cvt_f16_f32 v[vgprValuC+107], v[vgprValuC+107]   // convert C to fp16
_buffer_store_b16 v107, v106, s[sgprSrdD:sgprSrdD+3], 0, offen, offset:0,  sc0 sc1 // store D
v_cvt_f16_f32 v[vgprValuC+109], v[vgprValuC+109]   // convert C to fp16
_buffer_store_b16 v109, v108, s[sgprSrdD:sgprSrdD+3], 0, offen, offset:0,  sc0 sc1 // store D
v_cvt_f16_f32 v[vgprValuC+111], v[vgprValuC+111]   // convert C to fp16
_buffer_store_b16 v111, v110, s[sgprSrdD:sgprSrdD+3], 0, offen, offset:0,  sc0 sc1 // store D
v_cvt_f16_f32 v[vgprValuC+113], v[vgprValuC+113]   // convert C to fp16
_buffer_store_b16 v113, v112, s[sgprSrdD:sgprSrdD+3], 0, offen, offset:0,  sc0 sc1 // store D
v_cvt_f16_f32 v[vgprValuC+115], v[vgprValuC+115]   // convert C to fp16
_buffer_store_b16 v115, v114, s[sgprSrdD:sgprSrdD+3], 0, offen, offset:0,  sc0 sc1 // store D
v_cvt_f16_f32 v[vgprValuC+117], v[vgprValuC+117]   // convert C to fp16
_buffer_store_b16 v117, v116, s[sgprSrdD:sgprSrdD+3], 0, offen, offset:0,  sc0 sc1 // store D
v_cvt_f16_f32 v[vgprValuC+119], v[vgprValuC+119]   // convert C to fp16
_buffer_store_b16 v119, v118, s[sgprSrdD:sgprSrdD+3], 0, offen, offset:0,  sc0 sc1 // store D
v_cvt_f16_f32 v[vgprValuC+121], v[vgprValuC+121]   // convert C to fp16
_buffer_store_b16 v121, v120, s[sgprSrdD:sgprSrdD+3], 0, offen, offset:0,  sc0 sc1 // store D
v_cvt_f16_f32 v[vgprValuC+123], v[vgprValuC+123]   // convert C to fp16
_buffer_store_b16 v123, v122, s[sgprSrdD:sgprSrdD+3], 0, offen, offset:0,  sc0 sc1 // store D
v_cvt_f16_f32 v[vgprValuC+125], v[vgprValuC+125]   // convert C to fp16
_buffer_store_b16 v125, v124, s[sgprSrdD:sgprSrdD+3], 0, offen, offset:0,  sc0 sc1 // store D
v_cvt_f16_f32 v[vgprValuC+127], v[vgprValuC+127]   // convert C to fp16
_buffer_store_b16 v127, v126, s[sgprSrdD:sgprSrdD+3], 0, offen, offset:0,  sc0 sc1 // store D
v_cvt_f16_f32 v[vgprValuC+129], v[vgprValuC+129]   // convert C to fp16
_buffer_store_b16 v129, v128, s[sgprSrdD:sgprSrdD+3], 0, offen, offset:0,  sc0 sc1 // store D
v_cvt_f16_f32 v[vgprValuC+131], v[vgprValuC+131]   // convert C to fp16
_buffer_store_b16 v131, v130, s[sgprSrdD:sgprSrdD+3], 0, offen, offset:0,  sc0 sc1 // store D
v_cvt_f16_f32 v[vgprValuC+133], v[vgprValuC+133]   // convert C to fp16
_buffer_store_b16 v133, v132, s[sgprSrdD:sgprSrdD+3], 0, offen, offset:0,  sc0 sc1 // store D
v_cvt_f16_f32 v[vgprValuC+135], v[vgprValuC+135]   // convert C to fp16
_buffer_store_b16 v135, v134, s[sgprSrdD:sgprSrdD+3], 0, offen, offset:0,  sc0 sc1 // store D
v_cvt_f16_f32 v[vgprValuC+137], v[vgprValuC+137]   // convert C to fp16
_buffer_store_b16 v137, v136, s[sgprSrdD:sgprSrdD+3], 0, offen, offset:0,  sc0 sc1 // store D
v_cvt_f16_f32 v[vgprValuC+139], v[vgprValuC+139]   // convert C to fp16
_buffer_store_b16 v139, v138, s[sgprSrdD:sgprSrdD+3], 0, offen, offset:0,  sc0 sc1 // store D
v_cvt_f16_f32 v[vgprValuC+141], v[vgprValuC+141]   // convert C to fp16
_buffer_store_b16 v141, v140, s[sgprSrdD:sgprSrdD+3], 0, offen, offset:0,  sc0 sc1 // store D
v_cvt_f16_f32 v[vgprValuC+143], v[vgprValuC+143]   // convert C to fp16
_buffer_store_b16 v143, v142, s[sgprSrdD:sgprSrdD+3], 0, offen, offset:0,  sc0 sc1 // store D
v_cvt_f16_f32 v[vgprValuC+145], v[vgprValuC+145]   // convert C to fp16
_buffer_store_b16 v145, v144, s[sgprSrdD:sgprSrdD+3], 0, offen, offset:0,  sc0 sc1 // store D
v_cvt_f16_f32 v[vgprValuC+147], v[vgprValuC+147]   // convert C to fp16
_buffer_store_b16 v147, v146, s[sgprSrdD:sgprSrdD+3], 0, offen, offset:0,  sc0 sc1 // store D
v_cvt_f16_f32 v[vgprValuC+149], v[vgprValuC+149]   // convert C to fp16
_buffer_store_b16 v149, v148, s[sgprSrdD:sgprSrdD+3], 0, offen, offset:0,  sc0 sc1 // store D
v_cvt_f16_f32 v[vgprValuC+151], v[vgprValuC+151]   // convert C to fp16
_buffer_store_b16 v151, v150, s[sgprSrdD:sgprSrdD+3], 0, offen, offset:0,  sc0 sc1 // store D
v_cvt_f16_f32 v[vgprValuC+153], v[vgprValuC+153]   // convert C to fp16
_buffer_store_b16 v153, v152, s[sgprSrdD:sgprSrdD+3], 0, offen, offset:0,  sc0 sc1 // store D
v_cvt_f16_f32 v[vgprValuC+155], v[vgprValuC+155]   // convert C to fp16
_buffer_store_b16 v155, v154, s[sgprSrdD:sgprSrdD+3], 0, offen, offset:0,  sc0 sc1 // store D
v_cvt_f16_f32 v[vgprValuC+157], v[vgprValuC+157]   // convert C to fp16
_buffer_store_b16 v157, v156, s[sgprSrdD:sgprSrdD+3], 0, offen, offset:0,  sc0 sc1 // store D
v_cvt_f16_f32 v[vgprValuC+159], v[vgprValuC+159]   // convert C to fp16
_buffer_store_b16 v159, v158, s[sgprSrdD:sgprSrdD+3], 0, offen, offset:0,  sc0 sc1 // store D
v_cvt_f16_f32 v[vgprValuC+161], v[vgprValuC+161]   // convert C to fp16
_buffer_store_b16 v161, v160, s[sgprSrdD:sgprSrdD+3], 0, offen, offset:0,  sc0 sc1 // store D
v_cvt_f16_f32 v[vgprValuC+163], v[vgprValuC+163]   // convert C to fp16
_buffer_store_b16 v163, v162, s[sgprSrdD:sgprSrdD+3], 0, offen, offset:0,  sc0 sc1 // store D
v_cvt_f16_f32 v[vgprValuC+165], v[vgprValuC+165]   // convert C to fp16
_buffer_store_b16 v165, v164, s[sgprSrdD:sgprSrdD+3], 0, offen, offset:0,  sc0 sc1 // store D
v_cvt_f16_f32 v[vgprValuC+167], v[vgprValuC+167]   // convert C to fp16
_buffer_store_b16 v167, v166, s[sgprSrdD:sgprSrdD+3], 0, offen, offset:0,  sc0 sc1 // store D
v_cvt_f16_f32 v[vgprValuC+169], v[vgprValuC+169]   // convert C to fp16
_buffer_store_b16 v169, v168, s[sgprSrdD:sgprSrdD+3], 0, offen, offset:0,  sc0 sc1 // store D
v_cvt_f16_f32 v[vgprValuC+171], v[vgprValuC+171]   // convert C to fp16
_buffer_store_b16 v171, v170, s[sgprSrdD:sgprSrdD+3], 0, offen, offset:0,  sc0 sc1 // store D
v_cvt_f16_f32 v[vgprValuC+173], v[vgprValuC+173]   // convert C to fp16
_buffer_store_b16 v173, v172, s[sgprSrdD:sgprSrdD+3], 0, offen, offset:0,  sc0 sc1 // store D
v_cvt_f16_f32 v[vgprValuC+175], v[vgprValuC+175]   // convert C to fp16
_buffer_store_b16 v175, v174, s[sgprSrdD:sgprSrdD+3], 0, offen, offset:0,  sc0 sc1 // store D
v_cvt_f16_f32 v[vgprValuC+177], v[vgprValuC+177]   // convert C to fp16
_buffer_store_b16 v177, v176, s[sgprSrdD:sgprSrdD+3], 0, offen, offset:0,  sc0 sc1 // store D
v_cvt_f16_f32 v[vgprValuC+179], v[vgprValuC+179]   // convert C to fp16
_buffer_store_b16 v179, v178, s[sgprSrdD:sgprSrdD+3], 0, offen, offset:0,  sc0 sc1 // store D
v_cvt_f16_f32 v[vgprValuC+181], v[vgprValuC+181]   // convert C to fp16
_buffer_store_b16 v181, v180, s[sgprSrdD:sgprSrdD+3], 0, offen, offset:0,  sc0 sc1 // store D
v_cvt_f16_f32 v[vgprValuC+183], v[vgprValuC+183]   // convert C to fp16
_buffer_store_b16 v183, v182, s[sgprSrdD:sgprSrdD+3], 0, offen, offset:0,  sc0 sc1 // store D
v_cvt_f16_f32 v[vgprValuC+185], v[vgprValuC+185]   // convert C to fp16
_buffer_store_b16 v185, v184, s[sgprSrdD:sgprSrdD+3], 0, offen, offset:0,  sc0 sc1 // store D
v_cvt_f16_f32 v[vgprValuC+187], v[vgprValuC+187]   // convert C to fp16
_buffer_store_b16 v187, v186, s[sgprSrdD:sgprSrdD+3], 0, offen, offset:0,  sc0 sc1 // store D
v_cvt_f16_f32 v[vgprValuC+189], v[vgprValuC+189]   // convert C to fp16
_buffer_store_b16 v189, v188, s[sgprSrdD:sgprSrdD+3], 0, offen, offset:0,  sc0 sc1 // store D
v_cvt_f16_f32 v[vgprValuC+191], v[vgprValuC+191]   // convert C to fp16
_buffer_store_b16 v191, v190, s[sgprSrdD:sgprSrdD+3], 0, offen, offset:0,  sc0 sc1 // store D
v_cvt_f16_f32 v[vgprValuC+193], v[vgprValuC+193]   // convert C to fp16
_buffer_store_b16 v193, v192, s[sgprSrdD:sgprSrdD+3], 0, offen, offset:0,  sc0 sc1 // store D
v_cvt_f16_f32 v[vgprValuC+195], v[vgprValuC+195]   // convert C to fp16
_buffer_store_b16 v195, v194, s[sgprSrdD:sgprSrdD+3], 0, offen, offset:0,  sc0 sc1 // store D
v_cvt_f16_f32 v[vgprValuC+197], v[vgprValuC+197]   // convert C to fp16
_buffer_store_b16 v197, v196, s[sgprSrdD:sgprSrdD+3], 0, offen, offset:0,  sc0 sc1 // store D
v_cvt_f16_f32 v[vgprValuC+199], v[vgprValuC+199]   // convert C to fp16
_buffer_store_b16 v199, v198, s[sgprSrdD:sgprSrdD+3], 0, offen, offset:0,  sc0 sc1 // store D
v_cvt_f16_f32 v[vgprValuC+201], v[vgprValuC+201]   // convert C to fp16
_buffer_store_b16 v201, v200, s[sgprSrdD:sgprSrdD+3], 0, offen, offset:0,  sc0 sc1 // store D
v_cvt_f16_f32 v[vgprValuC+203], v[vgprValuC+203]   // convert C to fp16
_buffer_store_b16 v203, v202, s[sgprSrdD:sgprSrdD+3], 0, offen, offset:0,  sc0 sc1 // store D
v_cvt_f16_f32 v[vgprValuC+205], v[vgprValuC+205]   // convert C to fp16
_buffer_store_b16 v205, v204, s[sgprSrdD:sgprSrdD+3], 0, offen, offset:0,  sc0 sc1 // store D
v_cvt_f16_f32 v[vgprValuC+207], v[vgprValuC+207]   // convert C to fp16
_buffer_store_b16 v207, v206, s[sgprSrdD:sgprSrdD+3], 0, offen, offset:0,  sc0 sc1 // store D
v_cvt_f16_f32 v[vgprValuC+209], v[vgprValuC+209]   // convert C to fp16
_buffer_store_b16 v209, v208, s[sgprSrdD:sgprSrdD+3], 0, offen, offset:0,  sc0 sc1 // store D
v_cvt_f16_f32 v[vgprValuC+211], v[vgprValuC+211]   // convert C to fp16
_buffer_store_b16 v211, v210, s[sgprSrdD:sgprSrdD+3], 0, offen, offset:0,  sc0 sc1 // store D
v_cvt_f16_f32 v[vgprValuC+213], v[vgprValuC+213]   // convert C to fp16
_buffer_store_b16 v213, v212, s[sgprSrdD:sgprSrdD+3], 0, offen, offset:0,  sc0 sc1 // store D
v_cvt_f16_f32 v[vgprValuC+215], v[vgprValuC+215]   // convert C to fp16
_buffer_store_b16 v215, v214, s[sgprSrdD:sgprSrdD+3], 0, offen, offset:0,  sc0 sc1 // store D
v_cvt_f16_f32 v[vgprValuC+217], v[vgprValuC+217]   // convert C to fp16
_buffer_store_b16 v217, v216, s[sgprSrdD:sgprSrdD+3], 0, offen, offset:0,  sc0 sc1 // store D
v_cvt_f16_f32 v[vgprValuC+219], v[vgprValuC+219]   // convert C to fp16
_buffer_store_b16 v219, v218, s[sgprSrdD:sgprSrdD+3], 0, offen, offset:0,  sc0 sc1 // store D
v_cvt_f16_f32 v[vgprValuC+221], v[vgprValuC+221]   // convert C to fp16
_buffer_store_b16 v221, v220, s[sgprSrdD:sgprSrdD+3], 0, offen, offset:0,  sc0 sc1 // store D
v_cvt_f16_f32 v[vgprValuC+223], v[vgprValuC+223]   // convert C to fp16
_buffer_store_b16 v223, v222, s[sgprSrdD:sgprSrdD+3], 0, offen, offset:0,  sc0 sc1 // store D
v_cvt_f16_f32 v[vgprValuC+225], v[vgprValuC+225]   // convert C to fp16
_buffer_store_b16 v225, v224, s[sgprSrdD:sgprSrdD+3], 0, offen, offset:0,  sc0 sc1 // store D
v_cvt_f16_f32 v[vgprValuC+227], v[vgprValuC+227]   // convert C to fp16
_buffer_store_b16 v227, v226, s[sgprSrdD:sgprSrdD+3], 0, offen, offset:0,  sc0 sc1 // store D
v_cvt_f16_f32 v[vgprValuC+229], v[vgprValuC+229]   // convert C to fp16
_buffer_store_b16 v229, v228, s[sgprSrdD:sgprSrdD+3], 0, offen, offset:0,  sc0 sc1 // store D
v_cvt_f16_f32 v[vgprValuC+231], v[vgprValuC+231]   // convert C to fp16
_buffer_store_b16 v231, v230, s[sgprSrdD:sgprSrdD+3], 0, offen, offset:0,  sc0 sc1 // store D
v_cvt_f16_f32 v[vgprValuC+233], v[vgprValuC+233]   // convert C to fp16
_buffer_store_b16 v233, v232, s[sgprSrdD:sgprSrdD+3], 0, offen, offset:0,  sc0 sc1 // store D
v_cvt_f16_f32 v[vgprValuC+235], v[vgprValuC+235]   // convert C to fp16
_buffer_store_b16 v235, v234, s[sgprSrdD:sgprSrdD+3], 0, offen, offset:0,  sc0 sc1 // store D
v_cvt_f16_f32 v[vgprValuC+237], v[vgprValuC+237]   // convert C to fp16
_buffer_store_b16 v237, v236, s[sgprSrdD:sgprSrdD+3], 0, offen, offset:0,  sc0 sc1 // store D
v_cvt_f16_f32 v[vgprValuC+239], v[vgprValuC+239]   // convert C to fp16
_buffer_store_b16 v239, v238, s[sgprSrdD:sgprSrdD+3], 0, offen, offset:0,  sc0 sc1 // store D
v_cvt_f16_f32 v[vgprValuC+241], v[vgprValuC+241]   // convert C to fp16
_buffer_store_b16 v241, v240, s[sgprSrdD:sgprSrdD+3], 0, offen, offset:0,  sc0 sc1 // store D
v_cvt_f16_f32 v[vgprValuC+246], v[vgprValuC+246]   // convert C to fp16
_buffer_store_b16 v246, v245, s[sgprSrdD:sgprSrdD+3], 0, offen, offset:0,  sc0 sc1 // store D
v_cvt_f16_f32 v[vgprValuC+248], v[vgprValuC+248]   // convert C to fp16
_buffer_store_b16 v248, v247, s[sgprSrdD:sgprSrdD+3], 0, offen, offset:0,  sc0 sc1 // store D
v_cvt_f16_f32 v[vgprValuC+250], v[vgprValuC+250]   // convert C to fp16
_buffer_store_b16 v250, v249, s[sgprSrdD:sgprSrdD+3], 0, offen, offset:0,  sc0 sc1 // store D
v_cvt_f16_f32 v[vgprValuC+252], v[vgprValuC+252]   // convert C to fp16
_buffer_store_b16 v252, v251, s[sgprSrdD:sgprSrdD+3], 0, offen, offset:0,  sc0 sc1 // store D
s_nop 0                                            // 1 wait state required when next inst writes vgprs held by previous dwordx4 store inst
/* optSingleColVgpr=0 optSharedColVgpr=0 optSGPRUsage=BufferLoad_Edge_Mask optSrdIncForRow=0 */
s_sleep 5 // optimization: sync and wait
s_barrier

/******************************************/
/* Global Write Alpha Edge Batch #1 (d1,d0,vc1,vc0) = */
/*    (4,3,1,0:vw1); (4,4,1,0:vw1); (4,5,1,0:vw1); (4,6,1,0:vw1); (4,0,2,0:vw1); (4,1,2,0:vw1); (4,2,2,0:vw1); (4,3,2,0:vw1); (4,4,2,0:vw1); (4,5,2,0:vw1); (4,6,2,0:vw1); (4,0,3,0:vw1); (4,1,3,0:vw1); (4,2,3,0:vw1); (4,3,3,0:vw1); (4,4,3,0:vw1); (4,5,3,0:vw1); (4,6,3,0:vw1); (5,0,0,0:vw1); (5,1,0,0:vw1); (5,2,0,0:vw1); (5,3,0,0:vw1); (5,4,0,0:vw1); (5,5,0,0:vw1); (5,6,0,0:vw1); (5,0,1,0:vw1); (5,1,1,0:vw1); (5,2,1,0:vw1); (5,3,1,0:vw1); (5,4,1,0:vw1); (5,5,1,0:vw1); (5,6,1,0:vw1); (5,0,2,0:vw1); (5,1,2,0:vw1); (5,2,2,0:vw1); (5,3,2,0:vw1); (5,4,2,0:vw1); (5,5,2,0:vw1); (5,6,2,0:vw1); (5,0,3,0:vw1); (5,1,3,0:vw1); (5,2,3,0:vw1); (5,3,3,0:vw1); (5,4,3,0:vw1); (5,5,3,0:vw1); (5,6,3,0:vw1); (6,0,0,0:vw1); (6,1,0,0:vw1); (6,2,0,0:vw1); (6,3,0,0:vw1); (6,4,0,0:vw1); (6,5,0,0:vw1); (6,6,0,0:vw1); (6,0,1,0:vw1); (6,1,1,0:vw1); (6,2,1,0:vw1); (6,3,1,0:vw1); (6,4,1,0:vw1); (6,5,1,0:vw1); (6,6,1,0:vw1); (6,0,2,0:vw1); (6,1,2,0:vw1); (6,2,2,0:vw1); (6,3,2,0:vw1); (6,4,2,0:vw1); (6,5,2,0:vw1); (6,6,2,0:vw1); (6,0,3,0:vw1); (6,1,3,0:vw1); (6,2,3,0:vw1); (6,3,3,0:vw1); (6,4,3,0:vw1); (6,5,3,0:vw1); (6,6,3,0:vw1); (7,0,0,0:vw1); (7,1,0,0:vw1); (7,2,0,0:vw1); (7,3,0,0:vw1); (7,4,0,0:vw1); (7,5,0,0:vw1); (7,6,0,0:vw1); (7,0,1,0:vw1); (7,1,1,0:vw1); (7,2,1,0:vw1); (7,3,1,0:vw1); (7,4,1,0:vw1); (7,5,1,0:vw1); (7,6,1,0:vw1); (7,0,2,0:vw1); (7,1,2,0:vw1); (7,2,2,0:vw1); (7,3,2,0:vw1); (7,4,2,0:vw1); (7,5,2,0:vw1); (7,6,2,0:vw1); (7,0,3,0:vw1); (7,1,3,0:vw1); (7,2,3,0:vw1); (7,3,3,0:vw1); (7,4,3,0:vw1); (7,5,3,0:vw1); (7,6,3,0:vw1) */
/******************************************/

/* calc coords, apply mask, and issue loads (if necessary) */
/* (d1,vc1,d0,vc0)=(4,1,3,0) */
s_mov_b32 s54, 96                                  // coordOffset0 d0=3 vc0=0
_v_add_co_u32 v4, vcc, v0, s54                     // coord0.2: coord0 += d0*sg0*VW + vc0
v_cmp_lt_u32 s[54:55], v4, s[sgprSizeI]            // coord0 < size0
v_cmp_lt_u32 s[58:59], v1, s[sgprSizeJ]            // coord1 < size1
s_and_b64 s[58:59], s[54:55], s[58:59]             // in0 && in1
_v_add_lshl_u32 v6, v3, v4, 0x1                    // scaleToBpe: accumulate d0 lower and *= bpe into Cin addr
v_cndmask_b32 v6, -1, v6, s[58:59]                 // LDD clip if OOB. offset
/* (d1,vc1,d0,vc0)=(4,1,4,0) */
s_mov_b32 s54, 128                                 // coordOffset0 d0=4 vc0=0
_v_add_co_u32 v4, vcc, v0, s54                     // coord0.2: coord0 += d0*sg0*VW + vc0
v_cmp_lt_u32 s[54:55], v4, s[sgprSizeI]            // coord0 < size0
v_cmp_lt_u32 s[58:59], v1, s[sgprSizeJ]            // coord1 < size1
s_and_b64 s[58:59], s[54:55], s[58:59]             // in0 && in1
_v_add_lshl_u32 v8, v3, v4, 0x1                    // scaleToBpe: accumulate d0 lower and *= bpe into Cin addr
v_cndmask_b32 v8, -1, v8, s[58:59]                 // LDD clip if OOB. offset
/* (d1,vc1,d0,vc0)=(4,1,5,0) */
s_mov_b32 s54, 160                                 // coordOffset0 d0=5 vc0=0
_v_add_co_u32 v4, vcc, v0, s54                     // coord0.2: coord0 += d0*sg0*VW + vc0
v_cmp_lt_u32 s[54:55], v4, s[sgprSizeI]            // coord0 < size0
v_cmp_lt_u32 s[58:59], v1, s[sgprSizeJ]            // coord1 < size1
s_and_b64 s[58:59], s[54:55], s[58:59]             // in0 && in1
_v_add_lshl_u32 v10, v3, v4, 0x1                   // scaleToBpe: accumulate d0 lower and *= bpe into Cin addr
v_cndmask_b32 v10, -1, v10, s[58:59]               // LDD clip if OOB. offset
/* (d1,vc1,d0,vc0)=(4,1,6,0) */
s_mov_b32 s54, 192                                 // coordOffset0 d0=6 vc0=0
_v_add_co_u32 v4, vcc, v0, s54                     // coord0.2: coord0 += d0*sg0*VW + vc0
v_cmp_lt_u32 s[54:55], v4, s[sgprSizeI]            // coord0 < size0
v_cmp_lt_u32 s[58:59], v1, s[sgprSizeJ]            // coord1 < size1
s_and_b64 s[58:59], s[54:55], s[58:59]             // in0 && in1
_v_add_lshl_u32 v12, v3, v4, 0x1                   // scaleToBpe: accumulate d0 lower and *= bpe into Cin addr
v_cndmask_b32 v12, -1, v12, s[58:59]               // LDD clip if OOB. offset
/* (d1,vc1,d0,vc0)=(4,2,0,0) */
_v_add_co_u32 v1, vcc, v1, 1                       // coord1.1: coord1Vgpr += d1*sg1*VW + vc1

/* Fix for UseInitialStridesCD, emitAddressSetupCode */
_v_add_u32 v2, v2, s[sgprStrideC1J]                // ROWINC- Move cinRowPtr to next row
_v_add_u32 v3, v3, s[sgprStrideD1J]                // Move coutRowPtr to next row
v_cmp_lt_u32 s[54:55], v0, s[sgprSizeI]            // coord0 < size0
v_cmp_lt_u32 s[58:59], v1, s[sgprSizeJ]            // coord1 < size1
s_and_b64 s[58:59], s[54:55], s[58:59]             // in0 && in1
_v_add_lshl_u32 v14, v3, v0, 0x1                   // scaleToBpe: accumulate d0 lower and *= bpe into Cin addr
v_cndmask_b32 v14, -1, v14, s[58:59]               // LDD clip if OOB. offset
/* (d1,vc1,d0,vc0)=(4,2,1,0) */
_v_add_co_u32 v4, vcc, v0, 32                      // coord0.1: coord0 += d0*sg0*VW + vc0
v_cmp_lt_u32 s[54:55], v4, s[sgprSizeI]            // coord0 < size0
v_cmp_lt_u32 s[58:59], v1, s[sgprSizeJ]            // coord1 < size1
s_and_b64 s[58:59], s[54:55], s[58:59]             // in0 && in1
_v_add_lshl_u32 v16, v3, v4, 0x1                   // scaleToBpe: accumulate d0 lower and *= bpe into Cin addr
v_cndmask_b32 v16, -1, v16, s[58:59]               // LDD clip if OOB. offset
/* (d1,vc1,d0,vc0)=(4,2,2,0) */
_v_add_co_u32 v4, vcc, v0, 64                      // coord0.1: coord0 += d0*sg0*VW + vc0
v_cmp_lt_u32 s[54:55], v4, s[sgprSizeI]            // coord0 < size0
v_cmp_lt_u32 s[58:59], v1, s[sgprSizeJ]            // coord1 < size1
s_and_b64 s[58:59], s[54:55], s[58:59]             // in0 && in1
_v_add_lshl_u32 v18, v3, v4, 0x1                   // scaleToBpe: accumulate d0 lower and *= bpe into Cin addr
v_cndmask_b32 v18, -1, v18, s[58:59]               // LDD clip if OOB. offset
/* (d1,vc1,d0,vc0)=(4,2,3,0) */
s_mov_b32 s54, 96                                  // coordOffset0 d0=3 vc0=0
_v_add_co_u32 v4, vcc, v0, s54                     // coord0.2: coord0 += d0*sg0*VW + vc0
v_cmp_lt_u32 s[54:55], v4, s[sgprSizeI]            // coord0 < size0
v_cmp_lt_u32 s[58:59], v1, s[sgprSizeJ]            // coord1 < size1
s_and_b64 s[58:59], s[54:55], s[58:59]             // in0 && in1
_v_add_lshl_u32 v20, v3, v4, 0x1                   // scaleToBpe: accumulate d0 lower and *= bpe into Cin addr
v_cndmask_b32 v20, -1, v20, s[58:59]               // LDD clip if OOB. offset
/* (d1,vc1,d0,vc0)=(4,2,4,0) */
s_mov_b32 s54, 128                                 // coordOffset0 d0=4 vc0=0
_v_add_co_u32 v4, vcc, v0, s54                     // coord0.2: coord0 += d0*sg0*VW + vc0
v_cmp_lt_u32 s[54:55], v4, s[sgprSizeI]            // coord0 < size0
v_cmp_lt_u32 s[58:59], v1, s[sgprSizeJ]            // coord1 < size1
s_and_b64 s[58:59], s[54:55], s[58:59]             // in0 && in1
_v_add_lshl_u32 v22, v3, v4, 0x1                   // scaleToBpe: accumulate d0 lower and *= bpe into Cin addr
v_cndmask_b32 v22, -1, v22, s[58:59]               // LDD clip if OOB. offset
/* (d1,vc1,d0,vc0)=(4,2,5,0) */
s_mov_b32 s54, 160                                 // coordOffset0 d0=5 vc0=0
	;; [unrolled: 8-line block ×3, first 2 shown]
_v_add_co_u32 v4, vcc, v0, s54                     // coord0.2: coord0 += d0*sg0*VW + vc0
v_cmp_lt_u32 s[54:55], v4, s[sgprSizeI]            // coord0 < size0
v_cmp_lt_u32 s[58:59], v1, s[sgprSizeJ]            // coord1 < size1
s_and_b64 s[58:59], s[54:55], s[58:59]             // in0 && in1
_v_add_lshl_u32 v26, v3, v4, 0x1                   // scaleToBpe: accumulate d0 lower and *= bpe into Cin addr
v_cndmask_b32 v26, -1, v26, s[58:59]               // LDD clip if OOB. offset
/* (d1,vc1,d0,vc0)=(4,3,0,0) */
_v_add_co_u32 v1, vcc, v1, 1                       // coord1.1: coord1Vgpr += d1*sg1*VW + vc1

/* Fix for UseInitialStridesCD, emitAddressSetupCode */
_v_add_u32 v2, v2, s[sgprStrideC1J]                // ROWINC- Move cinRowPtr to next row
_v_add_u32 v3, v3, s[sgprStrideD1J]                // Move coutRowPtr to next row
v_cmp_lt_u32 s[54:55], v0, s[sgprSizeI]            // coord0 < size0
v_cmp_lt_u32 s[58:59], v1, s[sgprSizeJ]            // coord1 < size1
s_and_b64 s[58:59], s[54:55], s[58:59]             // in0 && in1
_v_add_lshl_u32 v28, v3, v0, 0x1                   // scaleToBpe: accumulate d0 lower and *= bpe into Cin addr
v_cndmask_b32 v28, -1, v28, s[58:59]               // LDD clip if OOB. offset
/* (d1,vc1,d0,vc0)=(4,3,1,0) */
_v_add_co_u32 v4, vcc, v0, 32                      // coord0.1: coord0 += d0*sg0*VW + vc0
v_cmp_lt_u32 s[54:55], v4, s[sgprSizeI]            // coord0 < size0
v_cmp_lt_u32 s[58:59], v1, s[sgprSizeJ]            // coord1 < size1
s_and_b64 s[58:59], s[54:55], s[58:59]             // in0 && in1
_v_add_lshl_u32 v30, v3, v4, 0x1                   // scaleToBpe: accumulate d0 lower and *= bpe into Cin addr
v_cndmask_b32 v30, -1, v30, s[58:59]               // LDD clip if OOB. offset
/* (d1,vc1,d0,vc0)=(4,3,2,0) */
_v_add_co_u32 v4, vcc, v0, 64                      // coord0.1: coord0 += d0*sg0*VW + vc0
v_cmp_lt_u32 s[54:55], v4, s[sgprSizeI]            // coord0 < size0
v_cmp_lt_u32 s[58:59], v1, s[sgprSizeJ]            // coord1 < size1
s_and_b64 s[58:59], s[54:55], s[58:59]             // in0 && in1
_v_add_lshl_u32 v32, v3, v4, 0x1                   // scaleToBpe: accumulate d0 lower and *= bpe into Cin addr
v_cndmask_b32 v32, -1, v32, s[58:59]               // LDD clip if OOB. offset
/* (d1,vc1,d0,vc0)=(4,3,3,0) */
s_mov_b32 s54, 96                                  // coordOffset0 d0=3 vc0=0
_v_add_co_u32 v4, vcc, v0, s54                     // coord0.2: coord0 += d0*sg0*VW + vc0
v_cmp_lt_u32 s[54:55], v4, s[sgprSizeI]            // coord0 < size0
v_cmp_lt_u32 s[58:59], v1, s[sgprSizeJ]            // coord1 < size1
s_and_b64 s[58:59], s[54:55], s[58:59]             // in0 && in1
_v_add_lshl_u32 v34, v3, v4, 0x1                   // scaleToBpe: accumulate d0 lower and *= bpe into Cin addr
v_cndmask_b32 v34, -1, v34, s[58:59]               // LDD clip if OOB. offset
/* (d1,vc1,d0,vc0)=(4,3,4,0) */
s_mov_b32 s54, 128                                 // coordOffset0 d0=4 vc0=0
_v_add_co_u32 v4, vcc, v0, s54                     // coord0.2: coord0 += d0*sg0*VW + vc0
v_cmp_lt_u32 s[54:55], v4, s[sgprSizeI]            // coord0 < size0
v_cmp_lt_u32 s[58:59], v1, s[sgprSizeJ]            // coord1 < size1
s_and_b64 s[58:59], s[54:55], s[58:59]             // in0 && in1
_v_add_lshl_u32 v36, v3, v4, 0x1                   // scaleToBpe: accumulate d0 lower and *= bpe into Cin addr
v_cndmask_b32 v36, -1, v36, s[58:59]               // LDD clip if OOB. offset
/* (d1,vc1,d0,vc0)=(4,3,5,0) */
s_mov_b32 s54, 160                                 // coordOffset0 d0=5 vc0=0
	;; [unrolled: 8-line block ×3, first 2 shown]
_v_add_co_u32 v4, vcc, v0, s54                     // coord0.2: coord0 += d0*sg0*VW + vc0
v_cmp_lt_u32 s[54:55], v4, s[sgprSizeI]            // coord0 < size0
v_cmp_lt_u32 s[58:59], v1, s[sgprSizeJ]            // coord1 < size1
s_and_b64 s[58:59], s[54:55], s[58:59]             // in0 && in1
_v_add_lshl_u32 v40, v3, v4, 0x1                   // scaleToBpe: accumulate d0 lower and *= bpe into Cin addr
v_cndmask_b32 v40, -1, v40, s[58:59]               // LDD clip if OOB. offset
/* (d1,vc1,d0,vc0)=(5,0,0,0) */
_v_add_co_u32 v1, vcc, v1, 29                      // coord1.1: coord1Vgpr += d1*sg1*VW + vc1

/* Fix for UseInitialStridesCD, emitAddressSetupCode */
s_mul_i32 s54, s[sgprStrideC1J], 29                // scale stride
_v_add_u32 v2, v2, s54                             // ROWINC- Move cinRowPtr to next row
s_mul_i32 s54, s[sgprStrideD1J], 29                // scale stride
_v_add_u32 v3, v3, s54                             // Move coutRowPtr to next row
v_cmp_lt_u32 s[54:55], v0, s[sgprSizeI]            // coord0 < size0
v_cmp_lt_u32 s[58:59], v1, s[sgprSizeJ]            // coord1 < size1
s_and_b64 s[58:59], s[54:55], s[58:59]             // in0 && in1
_v_add_lshl_u32 v42, v3, v0, 0x1                   // scaleToBpe: accumulate d0 lower and *= bpe into Cin addr
v_cndmask_b32 v42, -1, v42, s[58:59]               // LDD clip if OOB. offset
/* (d1,vc1,d0,vc0)=(5,0,1,0) */
_v_add_co_u32 v4, vcc, v0, 32                      // coord0.1: coord0 += d0*sg0*VW + vc0
v_cmp_lt_u32 s[54:55], v4, s[sgprSizeI]            // coord0 < size0
v_cmp_lt_u32 s[58:59], v1, s[sgprSizeJ]            // coord1 < size1
s_and_b64 s[58:59], s[54:55], s[58:59]             // in0 && in1
_v_add_lshl_u32 v44, v3, v4, 0x1                   // scaleToBpe: accumulate d0 lower and *= bpe into Cin addr
v_cndmask_b32 v44, -1, v44, s[58:59]               // LDD clip if OOB. offset
/* (d1,vc1,d0,vc0)=(5,0,2,0) */
_v_add_co_u32 v4, vcc, v0, 64                      // coord0.1: coord0 += d0*sg0*VW + vc0
v_cmp_lt_u32 s[54:55], v4, s[sgprSizeI]            // coord0 < size0
v_cmp_lt_u32 s[58:59], v1, s[sgprSizeJ]            // coord1 < size1
s_and_b64 s[58:59], s[54:55], s[58:59]             // in0 && in1
_v_add_lshl_u32 v46, v3, v4, 0x1                   // scaleToBpe: accumulate d0 lower and *= bpe into Cin addr
v_cndmask_b32 v46, -1, v46, s[58:59]               // LDD clip if OOB. offset
/* (d1,vc1,d0,vc0)=(5,0,3,0) */
s_mov_b32 s54, 96                                  // coordOffset0 d0=3 vc0=0
_v_add_co_u32 v4, vcc, v0, s54                     // coord0.2: coord0 += d0*sg0*VW + vc0
v_cmp_lt_u32 s[54:55], v4, s[sgprSizeI]            // coord0 < size0
v_cmp_lt_u32 s[58:59], v1, s[sgprSizeJ]            // coord1 < size1
s_and_b64 s[58:59], s[54:55], s[58:59]             // in0 && in1
_v_add_lshl_u32 v48, v3, v4, 0x1                   // scaleToBpe: accumulate d0 lower and *= bpe into Cin addr
v_cndmask_b32 v48, -1, v48, s[58:59]               // LDD clip if OOB. offset
/* (d1,vc1,d0,vc0)=(5,0,4,0) */
s_mov_b32 s54, 128                                 // coordOffset0 d0=4 vc0=0
_v_add_co_u32 v4, vcc, v0, s54                     // coord0.2: coord0 += d0*sg0*VW + vc0
v_cmp_lt_u32 s[54:55], v4, s[sgprSizeI]            // coord0 < size0
v_cmp_lt_u32 s[58:59], v1, s[sgprSizeJ]            // coord1 < size1
s_and_b64 s[58:59], s[54:55], s[58:59]             // in0 && in1
_v_add_lshl_u32 v50, v3, v4, 0x1                   // scaleToBpe: accumulate d0 lower and *= bpe into Cin addr
v_cndmask_b32 v50, -1, v50, s[58:59]               // LDD clip if OOB. offset
/* (d1,vc1,d0,vc0)=(5,0,5,0) */
s_mov_b32 s54, 160                                 // coordOffset0 d0=5 vc0=0
_v_add_co_u32 v4, vcc, v0, s54                     // coord0.2: coord0 += d0*sg0*VW + vc0
v_cmp_lt_u32 s[54:55], v4, s[sgprSizeI]            // coord0 < size0
v_cmp_lt_u32 s[58:59], v1, s[sgprSizeJ]            // coord1 < size1
s_and_b64 s[58:59], s[54:55], s[58:59]             // in0 && in1
_v_add_lshl_u32 v52, v3, v4, 0x1                   // scaleToBpe: accumulate d0 lower and *= bpe into Cin addr
v_cndmask_b32 v52, -1, v52, s[58:59]               // LDD clip if OOB. offset
/* (d1,vc1,d0,vc0)=(5,0,6,0) */
s_mov_b32 s54, 192                                 // coordOffset0 d0=6 vc0=0
_v_add_co_u32 v4, vcc, v0, s54                     // coord0.2: coord0 += d0*sg0*VW + vc0
v_cmp_lt_u32 s[54:55], v4, s[sgprSizeI]            // coord0 < size0
v_cmp_lt_u32 s[58:59], v1, s[sgprSizeJ]            // coord1 < size1
s_and_b64 s[58:59], s[54:55], s[58:59]             // in0 && in1
_v_add_lshl_u32 v54, v3, v4, 0x1                   // scaleToBpe: accumulate d0 lower and *= bpe into Cin addr
v_cndmask_b32 v54, -1, v54, s[58:59]               // LDD clip if OOB. offset
/* (d1,vc1,d0,vc0)=(5,1,0,0) */
_v_add_co_u32 v1, vcc, v1, 1                       // coord1.1: coord1Vgpr += d1*sg1*VW + vc1

/* Fix for UseInitialStridesCD, emitAddressSetupCode */
_v_add_u32 v2, v2, s[sgprStrideC1J]                // ROWINC- Move cinRowPtr to next row
_v_add_u32 v3, v3, s[sgprStrideD1J]                // Move coutRowPtr to next row
v_cmp_lt_u32 s[54:55], v0, s[sgprSizeI]            // coord0 < size0
v_cmp_lt_u32 s[58:59], v1, s[sgprSizeJ]            // coord1 < size1
s_and_b64 s[58:59], s[54:55], s[58:59]             // in0 && in1
_v_add_lshl_u32 v56, v3, v0, 0x1                   // scaleToBpe: accumulate d0 lower and *= bpe into Cin addr
v_cndmask_b32 v56, -1, v56, s[58:59]               // LDD clip if OOB. offset
/* (d1,vc1,d0,vc0)=(5,1,1,0) */
_v_add_co_u32 v4, vcc, v0, 32                      // coord0.1: coord0 += d0*sg0*VW + vc0
v_cmp_lt_u32 s[54:55], v4, s[sgprSizeI]            // coord0 < size0
v_cmp_lt_u32 s[58:59], v1, s[sgprSizeJ]            // coord1 < size1
s_and_b64 s[58:59], s[54:55], s[58:59]             // in0 && in1
_v_add_lshl_u32 v58, v3, v4, 0x1                   // scaleToBpe: accumulate d0 lower and *= bpe into Cin addr
v_cndmask_b32 v58, -1, v58, s[58:59]               // LDD clip if OOB. offset
/* (d1,vc1,d0,vc0)=(5,1,2,0) */
_v_add_co_u32 v4, vcc, v0, 64                      // coord0.1: coord0 += d0*sg0*VW + vc0
v_cmp_lt_u32 s[54:55], v4, s[sgprSizeI]            // coord0 < size0
v_cmp_lt_u32 s[58:59], v1, s[sgprSizeJ]            // coord1 < size1
s_and_b64 s[58:59], s[54:55], s[58:59]             // in0 && in1
_v_add_lshl_u32 v60, v3, v4, 0x1                   // scaleToBpe: accumulate d0 lower and *= bpe into Cin addr
v_cndmask_b32 v60, -1, v60, s[58:59]               // LDD clip if OOB. offset
/* (d1,vc1,d0,vc0)=(5,1,3,0) */
s_mov_b32 s54, 96                                  // coordOffset0 d0=3 vc0=0
_v_add_co_u32 v4, vcc, v0, s54                     // coord0.2: coord0 += d0*sg0*VW + vc0
v_cmp_lt_u32 s[54:55], v4, s[sgprSizeI]            // coord0 < size0
v_cmp_lt_u32 s[58:59], v1, s[sgprSizeJ]            // coord1 < size1
s_and_b64 s[58:59], s[54:55], s[58:59]             // in0 && in1
_v_add_lshl_u32 v62, v3, v4, 0x1                   // scaleToBpe: accumulate d0 lower and *= bpe into Cin addr
v_cndmask_b32 v62, -1, v62, s[58:59]               // LDD clip if OOB. offset
/* (d1,vc1,d0,vc0)=(5,1,4,0) */
s_mov_b32 s54, 128                                 // coordOffset0 d0=4 vc0=0
_v_add_co_u32 v4, vcc, v0, s54                     // coord0.2: coord0 += d0*sg0*VW + vc0
v_cmp_lt_u32 s[54:55], v4, s[sgprSizeI]            // coord0 < size0
v_cmp_lt_u32 s[58:59], v1, s[sgprSizeJ]            // coord1 < size1
s_and_b64 s[58:59], s[54:55], s[58:59]             // in0 && in1
_v_add_lshl_u32 v64, v3, v4, 0x1                   // scaleToBpe: accumulate d0 lower and *= bpe into Cin addr
v_cndmask_b32 v64, -1, v64, s[58:59]               // LDD clip if OOB. offset
/* (d1,vc1,d0,vc0)=(5,1,5,0) */
s_mov_b32 s54, 160                                 // coordOffset0 d0=5 vc0=0
_v_add_co_u32 v4, vcc, v0, s54                     // coord0.2: coord0 += d0*sg0*VW + vc0
v_cmp_lt_u32 s[54:55], v4, s[sgprSizeI]            // coord0 < size0
v_cmp_lt_u32 s[58:59], v1, s[sgprSizeJ]            // coord1 < size1
s_and_b64 s[58:59], s[54:55], s[58:59]             // in0 && in1
_v_add_lshl_u32 v66, v3, v4, 0x1                   // scaleToBpe: accumulate d0 lower and *= bpe into Cin addr
v_cndmask_b32 v66, -1, v66, s[58:59]               // LDD clip if OOB. offset
/* (d1,vc1,d0,vc0)=(5,1,6,0) */
s_mov_b32 s54, 192                                 // coordOffset0 d0=6 vc0=0
_v_add_co_u32 v4, vcc, v0, s54                     // coord0.2: coord0 += d0*sg0*VW + vc0
v_cmp_lt_u32 s[54:55], v4, s[sgprSizeI]            // coord0 < size0
v_cmp_lt_u32 s[58:59], v1, s[sgprSizeJ]            // coord1 < size1
s_and_b64 s[58:59], s[54:55], s[58:59]             // in0 && in1
_v_add_lshl_u32 v68, v3, v4, 0x1                   // scaleToBpe: accumulate d0 lower and *= bpe into Cin addr
v_cndmask_b32 v68, -1, v68, s[58:59]               // LDD clip if OOB. offset
/* (d1,vc1,d0,vc0)=(5,2,0,0) */
_v_add_co_u32 v1, vcc, v1, 1                       // coord1.1: coord1Vgpr += d1*sg1*VW + vc1

/* Fix for UseInitialStridesCD, emitAddressSetupCode */
_v_add_u32 v2, v2, s[sgprStrideC1J]                // ROWINC- Move cinRowPtr to next row
_v_add_u32 v3, v3, s[sgprStrideD1J]                // Move coutRowPtr to next row
	;; [unrolled: 57-line block ×3, first 2 shown]
v_cmp_lt_u32 s[54:55], v0, s[sgprSizeI]            // coord0 < size0
v_cmp_lt_u32 s[58:59], v1, s[sgprSizeJ]            // coord1 < size1
s_and_b64 s[58:59], s[54:55], s[58:59]             // in0 && in1
_v_add_lshl_u32 v84, v3, v0, 0x1                   // scaleToBpe: accumulate d0 lower and *= bpe into Cin addr
v_cndmask_b32 v84, -1, v84, s[58:59]               // LDD clip if OOB. offset
/* (d1,vc1,d0,vc0)=(5,3,1,0) */
_v_add_co_u32 v4, vcc, v0, 32                      // coord0.1: coord0 += d0*sg0*VW + vc0
v_cmp_lt_u32 s[54:55], v4, s[sgprSizeI]            // coord0 < size0
v_cmp_lt_u32 s[58:59], v1, s[sgprSizeJ]            // coord1 < size1
s_and_b64 s[58:59], s[54:55], s[58:59]             // in0 && in1
_v_add_lshl_u32 v86, v3, v4, 0x1                   // scaleToBpe: accumulate d0 lower and *= bpe into Cin addr
v_cndmask_b32 v86, -1, v86, s[58:59]               // LDD clip if OOB. offset
/* (d1,vc1,d0,vc0)=(5,3,2,0) */
_v_add_co_u32 v4, vcc, v0, 64                      // coord0.1: coord0 += d0*sg0*VW + vc0
v_cmp_lt_u32 s[54:55], v4, s[sgprSizeI]            // coord0 < size0
v_cmp_lt_u32 s[58:59], v1, s[sgprSizeJ]            // coord1 < size1
s_and_b64 s[58:59], s[54:55], s[58:59]             // in0 && in1
_v_add_lshl_u32 v88, v3, v4, 0x1                   // scaleToBpe: accumulate d0 lower and *= bpe into Cin addr
v_cndmask_b32 v88, -1, v88, s[58:59]               // LDD clip if OOB. offset
/* (d1,vc1,d0,vc0)=(5,3,3,0) */
s_mov_b32 s54, 96                                  // coordOffset0 d0=3 vc0=0
_v_add_co_u32 v4, vcc, v0, s54                     // coord0.2: coord0 += d0*sg0*VW + vc0
v_cmp_lt_u32 s[54:55], v4, s[sgprSizeI]            // coord0 < size0
v_cmp_lt_u32 s[58:59], v1, s[sgprSizeJ]            // coord1 < size1
s_and_b64 s[58:59], s[54:55], s[58:59]             // in0 && in1
_v_add_lshl_u32 v90, v3, v4, 0x1                   // scaleToBpe: accumulate d0 lower and *= bpe into Cin addr
v_cndmask_b32 v90, -1, v90, s[58:59]               // LDD clip if OOB. offset
/* (d1,vc1,d0,vc0)=(5,3,4,0) */
s_mov_b32 s54, 128                                 // coordOffset0 d0=4 vc0=0
_v_add_co_u32 v4, vcc, v0, s54                     // coord0.2: coord0 += d0*sg0*VW + vc0
v_cmp_lt_u32 s[54:55], v4, s[sgprSizeI]            // coord0 < size0
v_cmp_lt_u32 s[58:59], v1, s[sgprSizeJ]            // coord1 < size1
s_and_b64 s[58:59], s[54:55], s[58:59]             // in0 && in1
_v_add_lshl_u32 v92, v3, v4, 0x1                   // scaleToBpe: accumulate d0 lower and *= bpe into Cin addr
v_cndmask_b32 v92, -1, v92, s[58:59]               // LDD clip if OOB. offset
/* (d1,vc1,d0,vc0)=(5,3,5,0) */
s_mov_b32 s54, 160                                 // coordOffset0 d0=5 vc0=0
	;; [unrolled: 8-line block ×3, first 2 shown]
_v_add_co_u32 v4, vcc, v0, s54                     // coord0.2: coord0 += d0*sg0*VW + vc0
v_cmp_lt_u32 s[54:55], v4, s[sgprSizeI]            // coord0 < size0
v_cmp_lt_u32 s[58:59], v1, s[sgprSizeJ]            // coord1 < size1
s_and_b64 s[58:59], s[54:55], s[58:59]             // in0 && in1
_v_add_lshl_u32 v96, v3, v4, 0x1                   // scaleToBpe: accumulate d0 lower and *= bpe into Cin addr
v_cndmask_b32 v96, -1, v96, s[58:59]               // LDD clip if OOB. offset
/* (d1,vc1,d0,vc0)=(6,0,0,0) */
_v_add_co_u32 v1, vcc, v1, 29                      // coord1.1: coord1Vgpr += d1*sg1*VW + vc1

/* Fix for UseInitialStridesCD, emitAddressSetupCode */
s_mul_i32 s54, s[sgprStrideC1J], 29                // scale stride
_v_add_u32 v2, v2, s54                             // ROWINC- Move cinRowPtr to next row
s_mul_i32 s54, s[sgprStrideD1J], 29                // scale stride
_v_add_u32 v3, v3, s54                             // Move coutRowPtr to next row
v_cmp_lt_u32 s[54:55], v0, s[sgprSizeI]            // coord0 < size0
v_cmp_lt_u32 s[58:59], v1, s[sgprSizeJ]            // coord1 < size1
s_and_b64 s[58:59], s[54:55], s[58:59]             // in0 && in1
_v_add_lshl_u32 v98, v3, v0, 0x1                   // scaleToBpe: accumulate d0 lower and *= bpe into Cin addr
v_cndmask_b32 v98, -1, v98, s[58:59]               // LDD clip if OOB. offset
/* (d1,vc1,d0,vc0)=(6,0,1,0) */
_v_add_co_u32 v4, vcc, v0, 32                      // coord0.1: coord0 += d0*sg0*VW + vc0
v_cmp_lt_u32 s[54:55], v4, s[sgprSizeI]            // coord0 < size0
v_cmp_lt_u32 s[58:59], v1, s[sgprSizeJ]            // coord1 < size1
s_and_b64 s[58:59], s[54:55], s[58:59]             // in0 && in1
_v_add_lshl_u32 v100, v3, v4, 0x1                  // scaleToBpe: accumulate d0 lower and *= bpe into Cin addr
v_cndmask_b32 v100, -1, v100, s[58:59]             // LDD clip if OOB. offset
/* (d1,vc1,d0,vc0)=(6,0,2,0) */
_v_add_co_u32 v4, vcc, v0, 64                      // coord0.1: coord0 += d0*sg0*VW + vc0
v_cmp_lt_u32 s[54:55], v4, s[sgprSizeI]            // coord0 < size0
v_cmp_lt_u32 s[58:59], v1, s[sgprSizeJ]            // coord1 < size1
s_and_b64 s[58:59], s[54:55], s[58:59]             // in0 && in1
_v_add_lshl_u32 v102, v3, v4, 0x1                  // scaleToBpe: accumulate d0 lower and *= bpe into Cin addr
v_cndmask_b32 v102, -1, v102, s[58:59]             // LDD clip if OOB. offset
/* (d1,vc1,d0,vc0)=(6,0,3,0) */
s_mov_b32 s54, 96                                  // coordOffset0 d0=3 vc0=0
_v_add_co_u32 v4, vcc, v0, s54                     // coord0.2: coord0 += d0*sg0*VW + vc0
v_cmp_lt_u32 s[54:55], v4, s[sgprSizeI]            // coord0 < size0
v_cmp_lt_u32 s[58:59], v1, s[sgprSizeJ]            // coord1 < size1
s_and_b64 s[58:59], s[54:55], s[58:59]             // in0 && in1
_v_add_lshl_u32 v104, v3, v4, 0x1                  // scaleToBpe: accumulate d0 lower and *= bpe into Cin addr
v_cndmask_b32 v104, -1, v104, s[58:59]             // LDD clip if OOB. offset
/* (d1,vc1,d0,vc0)=(6,0,4,0) */
s_mov_b32 s54, 128                                 // coordOffset0 d0=4 vc0=0
_v_add_co_u32 v4, vcc, v0, s54                     // coord0.2: coord0 += d0*sg0*VW + vc0
v_cmp_lt_u32 s[54:55], v4, s[sgprSizeI]            // coord0 < size0
v_cmp_lt_u32 s[58:59], v1, s[sgprSizeJ]            // coord1 < size1
s_and_b64 s[58:59], s[54:55], s[58:59]             // in0 && in1
_v_add_lshl_u32 v106, v3, v4, 0x1                  // scaleToBpe: accumulate d0 lower and *= bpe into Cin addr
v_cndmask_b32 v106, -1, v106, s[58:59]             // LDD clip if OOB. offset
/* (d1,vc1,d0,vc0)=(6,0,5,0) */
s_mov_b32 s54, 160                                 // coordOffset0 d0=5 vc0=0
_v_add_co_u32 v4, vcc, v0, s54                     // coord0.2: coord0 += d0*sg0*VW + vc0
v_cmp_lt_u32 s[54:55], v4, s[sgprSizeI]            // coord0 < size0
v_cmp_lt_u32 s[58:59], v1, s[sgprSizeJ]            // coord1 < size1
s_and_b64 s[58:59], s[54:55], s[58:59]             // in0 && in1
_v_add_lshl_u32 v108, v3, v4, 0x1                  // scaleToBpe: accumulate d0 lower and *= bpe into Cin addr
v_cndmask_b32 v108, -1, v108, s[58:59]             // LDD clip if OOB. offset
/* (d1,vc1,d0,vc0)=(6,0,6,0) */
s_mov_b32 s54, 192                                 // coordOffset0 d0=6 vc0=0
_v_add_co_u32 v4, vcc, v0, s54                     // coord0.2: coord0 += d0*sg0*VW + vc0
v_cmp_lt_u32 s[54:55], v4, s[sgprSizeI]            // coord0 < size0
v_cmp_lt_u32 s[58:59], v1, s[sgprSizeJ]            // coord1 < size1
s_and_b64 s[58:59], s[54:55], s[58:59]             // in0 && in1
_v_add_lshl_u32 v110, v3, v4, 0x1                  // scaleToBpe: accumulate d0 lower and *= bpe into Cin addr
v_cndmask_b32 v110, -1, v110, s[58:59]             // LDD clip if OOB. offset
/* (d1,vc1,d0,vc0)=(6,1,0,0) */
_v_add_co_u32 v1, vcc, v1, 1                       // coord1.1: coord1Vgpr += d1*sg1*VW + vc1

/* Fix for UseInitialStridesCD, emitAddressSetupCode */
_v_add_u32 v2, v2, s[sgprStrideC1J]                // ROWINC- Move cinRowPtr to next row
_v_add_u32 v3, v3, s[sgprStrideD1J]                // Move coutRowPtr to next row
v_cmp_lt_u32 s[54:55], v0, s[sgprSizeI]            // coord0 < size0
v_cmp_lt_u32 s[58:59], v1, s[sgprSizeJ]            // coord1 < size1
s_and_b64 s[58:59], s[54:55], s[58:59]             // in0 && in1
_v_add_lshl_u32 v112, v3, v0, 0x1                  // scaleToBpe: accumulate d0 lower and *= bpe into Cin addr
v_cndmask_b32 v112, -1, v112, s[58:59]             // LDD clip if OOB. offset
/* (d1,vc1,d0,vc0)=(6,1,1,0) */
_v_add_co_u32 v4, vcc, v0, 32                      // coord0.1: coord0 += d0*sg0*VW + vc0
v_cmp_lt_u32 s[54:55], v4, s[sgprSizeI]            // coord0 < size0
v_cmp_lt_u32 s[58:59], v1, s[sgprSizeJ]            // coord1 < size1
s_and_b64 s[58:59], s[54:55], s[58:59]             // in0 && in1
_v_add_lshl_u32 v114, v3, v4, 0x1                  // scaleToBpe: accumulate d0 lower and *= bpe into Cin addr
v_cndmask_b32 v114, -1, v114, s[58:59]             // LDD clip if OOB. offset
/* (d1,vc1,d0,vc0)=(6,1,2,0) */
_v_add_co_u32 v4, vcc, v0, 64                      // coord0.1: coord0 += d0*sg0*VW + vc0
v_cmp_lt_u32 s[54:55], v4, s[sgprSizeI]            // coord0 < size0
v_cmp_lt_u32 s[58:59], v1, s[sgprSizeJ]            // coord1 < size1
s_and_b64 s[58:59], s[54:55], s[58:59]             // in0 && in1
_v_add_lshl_u32 v116, v3, v4, 0x1                  // scaleToBpe: accumulate d0 lower and *= bpe into Cin addr
v_cndmask_b32 v116, -1, v116, s[58:59]             // LDD clip if OOB. offset
/* (d1,vc1,d0,vc0)=(6,1,3,0) */
s_mov_b32 s54, 96                                  // coordOffset0 d0=3 vc0=0
_v_add_co_u32 v4, vcc, v0, s54                     // coord0.2: coord0 += d0*sg0*VW + vc0
v_cmp_lt_u32 s[54:55], v4, s[sgprSizeI]            // coord0 < size0
v_cmp_lt_u32 s[58:59], v1, s[sgprSizeJ]            // coord1 < size1
s_and_b64 s[58:59], s[54:55], s[58:59]             // in0 && in1
_v_add_lshl_u32 v118, v3, v4, 0x1                  // scaleToBpe: accumulate d0 lower and *= bpe into Cin addr
v_cndmask_b32 v118, -1, v118, s[58:59]             // LDD clip if OOB. offset
/* (d1,vc1,d0,vc0)=(6,1,4,0) */
s_mov_b32 s54, 128                                 // coordOffset0 d0=4 vc0=0
_v_add_co_u32 v4, vcc, v0, s54                     // coord0.2: coord0 += d0*sg0*VW + vc0
v_cmp_lt_u32 s[54:55], v4, s[sgprSizeI]            // coord0 < size0
v_cmp_lt_u32 s[58:59], v1, s[sgprSizeJ]            // coord1 < size1
s_and_b64 s[58:59], s[54:55], s[58:59]             // in0 && in1
_v_add_lshl_u32 v120, v3, v4, 0x1                  // scaleToBpe: accumulate d0 lower and *= bpe into Cin addr
v_cndmask_b32 v120, -1, v120, s[58:59]             // LDD clip if OOB. offset
/* (d1,vc1,d0,vc0)=(6,1,5,0) */
s_mov_b32 s54, 160                                 // coordOffset0 d0=5 vc0=0
_v_add_co_u32 v4, vcc, v0, s54                     // coord0.2: coord0 += d0*sg0*VW + vc0
v_cmp_lt_u32 s[54:55], v4, s[sgprSizeI]            // coord0 < size0
v_cmp_lt_u32 s[58:59], v1, s[sgprSizeJ]            // coord1 < size1
s_and_b64 s[58:59], s[54:55], s[58:59]             // in0 && in1
_v_add_lshl_u32 v122, v3, v4, 0x1                  // scaleToBpe: accumulate d0 lower and *= bpe into Cin addr
v_cndmask_b32 v122, -1, v122, s[58:59]             // LDD clip if OOB. offset
/* (d1,vc1,d0,vc0)=(6,1,6,0) */
s_mov_b32 s54, 192                                 // coordOffset0 d0=6 vc0=0
_v_add_co_u32 v4, vcc, v0, s54                     // coord0.2: coord0 += d0*sg0*VW + vc0
v_cmp_lt_u32 s[54:55], v4, s[sgprSizeI]            // coord0 < size0
v_cmp_lt_u32 s[58:59], v1, s[sgprSizeJ]            // coord1 < size1
s_and_b64 s[58:59], s[54:55], s[58:59]             // in0 && in1
_v_add_lshl_u32 v124, v3, v4, 0x1                  // scaleToBpe: accumulate d0 lower and *= bpe into Cin addr
v_cndmask_b32 v124, -1, v124, s[58:59]             // LDD clip if OOB. offset
/* (d1,vc1,d0,vc0)=(6,2,0,0) */
_v_add_co_u32 v1, vcc, v1, 1                       // coord1.1: coord1Vgpr += d1*sg1*VW + vc1

/* Fix for UseInitialStridesCD, emitAddressSetupCode */
_v_add_u32 v2, v2, s[sgprStrideC1J]                // ROWINC- Move cinRowPtr to next row
_v_add_u32 v3, v3, s[sgprStrideD1J]                // Move coutRowPtr to next row
v_cmp_lt_u32 s[54:55], v0, s[sgprSizeI]            // coord0 < size0
v_cmp_lt_u32 s[58:59], v1, s[sgprSizeJ]            // coord1 < size1
s_and_b64 s[58:59], s[54:55], s[58:59]             // in0 && in1
_v_add_lshl_u32 v126, v3, v0, 0x1                  // scaleToBpe: accumulate d0 lower and *= bpe into Cin addr
v_cndmask_b32 v126, -1, v126, s[58:59]             // LDD clip if OOB. offset
/* (d1,vc1,d0,vc0)=(6,2,1,0) */
_v_add_co_u32 v4, vcc, v0, 32                      // coord0.1: coord0 += d0*sg0*VW + vc0
v_cmp_lt_u32 s[54:55], v4, s[sgprSizeI]            // coord0 < size0
v_cmp_lt_u32 s[58:59], v1, s[sgprSizeJ]            // coord1 < size1
s_and_b64 s[58:59], s[54:55], s[58:59]             // in0 && in1
_v_add_lshl_u32 v128, v3, v4, 0x1                  // scaleToBpe: accumulate d0 lower and *= bpe into Cin addr
v_cndmask_b32 v128, -1, v128, s[58:59]             // LDD clip if OOB. offset
/* (d1,vc1,d0,vc0)=(6,2,2,0) */
_v_add_co_u32 v4, vcc, v0, 64                      // coord0.1: coord0 += d0*sg0*VW + vc0
v_cmp_lt_u32 s[54:55], v4, s[sgprSizeI]            // coord0 < size0
v_cmp_lt_u32 s[58:59], v1, s[sgprSizeJ]            // coord1 < size1
s_and_b64 s[58:59], s[54:55], s[58:59]             // in0 && in1
_v_add_lshl_u32 v130, v3, v4, 0x1                  // scaleToBpe: accumulate d0 lower and *= bpe into Cin addr
v_cndmask_b32 v130, -1, v130, s[58:59]             // LDD clip if OOB. offset
/* (d1,vc1,d0,vc0)=(6,2,3,0) */
s_mov_b32 s54, 96                                  // coordOffset0 d0=3 vc0=0
_v_add_co_u32 v4, vcc, v0, s54                     // coord0.2: coord0 += d0*sg0*VW + vc0
v_cmp_lt_u32 s[54:55], v4, s[sgprSizeI]            // coord0 < size0
v_cmp_lt_u32 s[58:59], v1, s[sgprSizeJ]            // coord1 < size1
s_and_b64 s[58:59], s[54:55], s[58:59]             // in0 && in1
_v_add_lshl_u32 v132, v3, v4, 0x1                  // scaleToBpe: accumulate d0 lower and *= bpe into Cin addr
v_cndmask_b32 v132, -1, v132, s[58:59]             // LDD clip if OOB. offset
/* (d1,vc1,d0,vc0)=(6,2,4,0) */
s_mov_b32 s54, 128                                 // coordOffset0 d0=4 vc0=0
_v_add_co_u32 v4, vcc, v0, s54                     // coord0.2: coord0 += d0*sg0*VW + vc0
v_cmp_lt_u32 s[54:55], v4, s[sgprSizeI]            // coord0 < size0
v_cmp_lt_u32 s[58:59], v1, s[sgprSizeJ]            // coord1 < size1
s_and_b64 s[58:59], s[54:55], s[58:59]             // in0 && in1
_v_add_lshl_u32 v134, v3, v4, 0x1                  // scaleToBpe: accumulate d0 lower and *= bpe into Cin addr
v_cndmask_b32 v134, -1, v134, s[58:59]             // LDD clip if OOB. offset
/* (d1,vc1,d0,vc0)=(6,2,5,0) */
s_mov_b32 s54, 160                                 // coordOffset0 d0=5 vc0=0
_v_add_co_u32 v4, vcc, v0, s54                     // coord0.2: coord0 += d0*sg0*VW + vc0
v_cmp_lt_u32 s[54:55], v4, s[sgprSizeI]            // coord0 < size0
v_cmp_lt_u32 s[58:59], v1, s[sgprSizeJ]            // coord1 < size1
s_and_b64 s[58:59], s[54:55], s[58:59]             // in0 && in1
_v_add_lshl_u32 v136, v3, v4, 0x1                  // scaleToBpe: accumulate d0 lower and *= bpe into Cin addr
v_cndmask_b32 v136, -1, v136, s[58:59]             // LDD clip if OOB. offset
/* (d1,vc1,d0,vc0)=(6,2,6,0) */
s_mov_b32 s54, 192                                 // coordOffset0 d0=6 vc0=0
_v_add_co_u32 v4, vcc, v0, s54                     // coord0.2: coord0 += d0*sg0*VW + vc0
v_cmp_lt_u32 s[54:55], v4, s[sgprSizeI]            // coord0 < size0
v_cmp_lt_u32 s[58:59], v1, s[sgprSizeJ]            // coord1 < size1
s_and_b64 s[58:59], s[54:55], s[58:59]             // in0 && in1
_v_add_lshl_u32 v138, v3, v4, 0x1                  // scaleToBpe: accumulate d0 lower and *= bpe into Cin addr
v_cndmask_b32 v138, -1, v138, s[58:59]             // LDD clip if OOB. offset
/* (d1,vc1,d0,vc0)=(6,3,0,0) */
_v_add_co_u32 v1, vcc, v1, 1                       // coord1.1: coord1Vgpr += d1*sg1*VW + vc1

/* Fix for UseInitialStridesCD, emitAddressSetupCode */
_v_add_u32 v2, v2, s[sgprStrideC1J]                // ROWINC- Move cinRowPtr to next row
_v_add_u32 v3, v3, s[sgprStrideD1J]                // Move coutRowPtr to next row
v_cmp_lt_u32 s[54:55], v0, s[sgprSizeI]            // coord0 < size0
v_cmp_lt_u32 s[58:59], v1, s[sgprSizeJ]            // coord1 < size1
s_and_b64 s[58:59], s[54:55], s[58:59]             // in0 && in1
_v_add_lshl_u32 v140, v3, v0, 0x1                  // scaleToBpe: accumulate d0 lower and *= bpe into Cin addr
v_cndmask_b32 v140, -1, v140, s[58:59]             // LDD clip if OOB. offset
/* (d1,vc1,d0,vc0)=(6,3,1,0) */
_v_add_co_u32 v4, vcc, v0, 32                      // coord0.1: coord0 += d0*sg0*VW + vc0
v_cmp_lt_u32 s[54:55], v4, s[sgprSizeI]            // coord0 < size0
v_cmp_lt_u32 s[58:59], v1, s[sgprSizeJ]            // coord1 < size1
s_and_b64 s[58:59], s[54:55], s[58:59]             // in0 && in1
_v_add_lshl_u32 v142, v3, v4, 0x1                  // scaleToBpe: accumulate d0 lower and *= bpe into Cin addr
v_cndmask_b32 v142, -1, v142, s[58:59]             // LDD clip if OOB. offset
/* (d1,vc1,d0,vc0)=(6,3,2,0) */
_v_add_co_u32 v4, vcc, v0, 64                      // coord0.1: coord0 += d0*sg0*VW + vc0
v_cmp_lt_u32 s[54:55], v4, s[sgprSizeI]            // coord0 < size0
v_cmp_lt_u32 s[58:59], v1, s[sgprSizeJ]            // coord1 < size1
s_and_b64 s[58:59], s[54:55], s[58:59]             // in0 && in1
_v_add_lshl_u32 v144, v3, v4, 0x1                  // scaleToBpe: accumulate d0 lower and *= bpe into Cin addr
v_cndmask_b32 v144, -1, v144, s[58:59]             // LDD clip if OOB. offset
/* (d1,vc1,d0,vc0)=(6,3,3,0) */
s_mov_b32 s54, 96                                  // coordOffset0 d0=3 vc0=0
_v_add_co_u32 v4, vcc, v0, s54                     // coord0.2: coord0 += d0*sg0*VW + vc0
v_cmp_lt_u32 s[54:55], v4, s[sgprSizeI]            // coord0 < size0
v_cmp_lt_u32 s[58:59], v1, s[sgprSizeJ]            // coord1 < size1
s_and_b64 s[58:59], s[54:55], s[58:59]             // in0 && in1
_v_add_lshl_u32 v146, v3, v4, 0x1                  // scaleToBpe: accumulate d0 lower and *= bpe into Cin addr
v_cndmask_b32 v146, -1, v146, s[58:59]             // LDD clip if OOB. offset
/* (d1,vc1,d0,vc0)=(6,3,4,0) */
s_mov_b32 s54, 128                                 // coordOffset0 d0=4 vc0=0
_v_add_co_u32 v4, vcc, v0, s54                     // coord0.2: coord0 += d0*sg0*VW + vc0
v_cmp_lt_u32 s[54:55], v4, s[sgprSizeI]            // coord0 < size0
v_cmp_lt_u32 s[58:59], v1, s[sgprSizeJ]            // coord1 < size1
s_and_b64 s[58:59], s[54:55], s[58:59]             // in0 && in1
_v_add_lshl_u32 v148, v3, v4, 0x1                  // scaleToBpe: accumulate d0 lower and *= bpe into Cin addr
v_cndmask_b32 v148, -1, v148, s[58:59]             // LDD clip if OOB. offset
/* (d1,vc1,d0,vc0)=(6,3,5,0) */
s_mov_b32 s54, 160                                 // coordOffset0 d0=5 vc0=0
_v_add_co_u32 v4, vcc, v0, s54                     // coord0.2: coord0 += d0*sg0*VW + vc0
v_cmp_lt_u32 s[54:55], v4, s[sgprSizeI]            // coord0 < size0
v_cmp_lt_u32 s[58:59], v1, s[sgprSizeJ]            // coord1 < size1
s_and_b64 s[58:59], s[54:55], s[58:59]             // in0 && in1
_v_add_lshl_u32 v150, v3, v4, 0x1                  // scaleToBpe: accumulate d0 lower and *= bpe into Cin addr
v_cndmask_b32 v150, -1, v150, s[58:59]             // LDD clip if OOB. offset
/* (d1,vc1,d0,vc0)=(6,3,6,0) */
s_mov_b32 s54, 192                                 // coordOffset0 d0=6 vc0=0
_v_add_co_u32 v4, vcc, v0, s54                     // coord0.2: coord0 += d0*sg0*VW + vc0
v_cmp_lt_u32 s[54:55], v4, s[sgprSizeI]            // coord0 < size0
v_cmp_lt_u32 s[58:59], v1, s[sgprSizeJ]            // coord1 < size1
s_and_b64 s[58:59], s[54:55], s[58:59]             // in0 && in1
_v_add_lshl_u32 v152, v3, v4, 0x1                  // scaleToBpe: accumulate d0 lower and *= bpe into Cin addr
v_cndmask_b32 v152, -1, v152, s[58:59]             // LDD clip if OOB. offset
/* (d1,vc1,d0,vc0)=(7,0,0,0) */
_v_add_co_u32 v1, vcc, v1, 29                      // coord1.1: coord1Vgpr += d1*sg1*VW + vc1

/* Fix for UseInitialStridesCD, emitAddressSetupCode */
s_mul_i32 s54, s[sgprStrideC1J], 29                // scale stride
_v_add_u32 v2, v2, s54                             // ROWINC- Move cinRowPtr to next row
s_mul_i32 s54, s[sgprStrideD1J], 29                // scale stride
_v_add_u32 v3, v3, s54                             // Move coutRowPtr to next row
v_cmp_lt_u32 s[54:55], v0, s[sgprSizeI]            // coord0 < size0
v_cmp_lt_u32 s[58:59], v1, s[sgprSizeJ]            // coord1 < size1
s_and_b64 s[58:59], s[54:55], s[58:59]             // in0 && in1
_v_add_lshl_u32 v154, v3, v0, 0x1                  // scaleToBpe: accumulate d0 lower and *= bpe into Cin addr
v_cndmask_b32 v154, -1, v154, s[58:59]             // LDD clip if OOB. offset
/* (d1,vc1,d0,vc0)=(7,0,1,0) */
_v_add_co_u32 v4, vcc, v0, 32                      // coord0.1: coord0 += d0*sg0*VW + vc0
v_cmp_lt_u32 s[54:55], v4, s[sgprSizeI]            // coord0 < size0
v_cmp_lt_u32 s[58:59], v1, s[sgprSizeJ]            // coord1 < size1
s_and_b64 s[58:59], s[54:55], s[58:59]             // in0 && in1
_v_add_lshl_u32 v156, v3, v4, 0x1                  // scaleToBpe: accumulate d0 lower and *= bpe into Cin addr
v_cndmask_b32 v156, -1, v156, s[58:59]             // LDD clip if OOB. offset
/* (d1,vc1,d0,vc0)=(7,0,2,0) */
_v_add_co_u32 v4, vcc, v0, 64                      // coord0.1: coord0 += d0*sg0*VW + vc0
v_cmp_lt_u32 s[54:55], v4, s[sgprSizeI]            // coord0 < size0
v_cmp_lt_u32 s[58:59], v1, s[sgprSizeJ]            // coord1 < size1
s_and_b64 s[58:59], s[54:55], s[58:59]             // in0 && in1
_v_add_lshl_u32 v158, v3, v4, 0x1                  // scaleToBpe: accumulate d0 lower and *= bpe into Cin addr
v_cndmask_b32 v158, -1, v158, s[58:59]             // LDD clip if OOB. offset
/* (d1,vc1,d0,vc0)=(7,0,3,0) */
s_mov_b32 s54, 96                                  // coordOffset0 d0=3 vc0=0
_v_add_co_u32 v4, vcc, v0, s54                     // coord0.2: coord0 += d0*sg0*VW + vc0
v_cmp_lt_u32 s[54:55], v4, s[sgprSizeI]            // coord0 < size0
v_cmp_lt_u32 s[58:59], v1, s[sgprSizeJ]            // coord1 < size1
s_and_b64 s[58:59], s[54:55], s[58:59]             // in0 && in1
_v_add_lshl_u32 v160, v3, v4, 0x1                  // scaleToBpe: accumulate d0 lower and *= bpe into Cin addr
v_cndmask_b32 v160, -1, v160, s[58:59]             // LDD clip if OOB. offset
/* (d1,vc1,d0,vc0)=(7,0,4,0) */
s_mov_b32 s54, 128                                 // coordOffset0 d0=4 vc0=0
_v_add_co_u32 v4, vcc, v0, s54                     // coord0.2: coord0 += d0*sg0*VW + vc0
v_cmp_lt_u32 s[54:55], v4, s[sgprSizeI]            // coord0 < size0
v_cmp_lt_u32 s[58:59], v1, s[sgprSizeJ]            // coord1 < size1
s_and_b64 s[58:59], s[54:55], s[58:59]             // in0 && in1
_v_add_lshl_u32 v162, v3, v4, 0x1                  // scaleToBpe: accumulate d0 lower and *= bpe into Cin addr
v_cndmask_b32 v162, -1, v162, s[58:59]             // LDD clip if OOB. offset
/* (d1,vc1,d0,vc0)=(7,0,5,0) */
s_mov_b32 s54, 160                                 // coordOffset0 d0=5 vc0=0
_v_add_co_u32 v4, vcc, v0, s54                     // coord0.2: coord0 += d0*sg0*VW + vc0
v_cmp_lt_u32 s[54:55], v4, s[sgprSizeI]            // coord0 < size0
v_cmp_lt_u32 s[58:59], v1, s[sgprSizeJ]            // coord1 < size1
s_and_b64 s[58:59], s[54:55], s[58:59]             // in0 && in1
_v_add_lshl_u32 v164, v3, v4, 0x1                  // scaleToBpe: accumulate d0 lower and *= bpe into Cin addr
v_cndmask_b32 v164, -1, v164, s[58:59]             // LDD clip if OOB. offset
/* (d1,vc1,d0,vc0)=(7,0,6,0) */
s_mov_b32 s54, 192                                 // coordOffset0 d0=6 vc0=0
_v_add_co_u32 v4, vcc, v0, s54                     // coord0.2: coord0 += d0*sg0*VW + vc0
v_cmp_lt_u32 s[54:55], v4, s[sgprSizeI]            // coord0 < size0
v_cmp_lt_u32 s[58:59], v1, s[sgprSizeJ]            // coord1 < size1
s_and_b64 s[58:59], s[54:55], s[58:59]             // in0 && in1
_v_add_lshl_u32 v166, v3, v4, 0x1                  // scaleToBpe: accumulate d0 lower and *= bpe into Cin addr
v_cndmask_b32 v166, -1, v166, s[58:59]             // LDD clip if OOB. offset
/* (d1,vc1,d0,vc0)=(7,1,0,0) */
_v_add_co_u32 v1, vcc, v1, 1                       // coord1.1: coord1Vgpr += d1*sg1*VW + vc1

/* Fix for UseInitialStridesCD, emitAddressSetupCode */
_v_add_u32 v2, v2, s[sgprStrideC1J]                // ROWINC- Move cinRowPtr to next row
_v_add_u32 v3, v3, s[sgprStrideD1J]                // Move coutRowPtr to next row
v_cmp_lt_u32 s[54:55], v0, s[sgprSizeI]            // coord0 < size0
v_cmp_lt_u32 s[58:59], v1, s[sgprSizeJ]            // coord1 < size1
s_and_b64 s[58:59], s[54:55], s[58:59]             // in0 && in1
_v_add_lshl_u32 v168, v3, v0, 0x1                  // scaleToBpe: accumulate d0 lower and *= bpe into Cin addr
v_cndmask_b32 v168, -1, v168, s[58:59]             // LDD clip if OOB. offset
/* (d1,vc1,d0,vc0)=(7,1,1,0) */
_v_add_co_u32 v4, vcc, v0, 32                      // coord0.1: coord0 += d0*sg0*VW + vc0
v_cmp_lt_u32 s[54:55], v4, s[sgprSizeI]            // coord0 < size0
v_cmp_lt_u32 s[58:59], v1, s[sgprSizeJ]            // coord1 < size1
s_and_b64 s[58:59], s[54:55], s[58:59]             // in0 && in1
_v_add_lshl_u32 v170, v3, v4, 0x1                  // scaleToBpe: accumulate d0 lower and *= bpe into Cin addr
v_cndmask_b32 v170, -1, v170, s[58:59]             // LDD clip if OOB. offset
/* (d1,vc1,d0,vc0)=(7,1,2,0) */
_v_add_co_u32 v4, vcc, v0, 64                      // coord0.1: coord0 += d0*sg0*VW + vc0
v_cmp_lt_u32 s[54:55], v4, s[sgprSizeI]            // coord0 < size0
v_cmp_lt_u32 s[58:59], v1, s[sgprSizeJ]            // coord1 < size1
s_and_b64 s[58:59], s[54:55], s[58:59]             // in0 && in1
_v_add_lshl_u32 v172, v3, v4, 0x1                  // scaleToBpe: accumulate d0 lower and *= bpe into Cin addr
v_cndmask_b32 v172, -1, v172, s[58:59]             // LDD clip if OOB. offset
/* (d1,vc1,d0,vc0)=(7,1,3,0) */
s_mov_b32 s54, 96                                  // coordOffset0 d0=3 vc0=0
_v_add_co_u32 v4, vcc, v0, s54                     // coord0.2: coord0 += d0*sg0*VW + vc0
v_cmp_lt_u32 s[54:55], v4, s[sgprSizeI]            // coord0 < size0
v_cmp_lt_u32 s[58:59], v1, s[sgprSizeJ]            // coord1 < size1
s_and_b64 s[58:59], s[54:55], s[58:59]             // in0 && in1
_v_add_lshl_u32 v174, v3, v4, 0x1                  // scaleToBpe: accumulate d0 lower and *= bpe into Cin addr
v_cndmask_b32 v174, -1, v174, s[58:59]             // LDD clip if OOB. offset
/* (d1,vc1,d0,vc0)=(7,1,4,0) */
s_mov_b32 s54, 128                                 // coordOffset0 d0=4 vc0=0
_v_add_co_u32 v4, vcc, v0, s54                     // coord0.2: coord0 += d0*sg0*VW + vc0
v_cmp_lt_u32 s[54:55], v4, s[sgprSizeI]            // coord0 < size0
v_cmp_lt_u32 s[58:59], v1, s[sgprSizeJ]            // coord1 < size1
s_and_b64 s[58:59], s[54:55], s[58:59]             // in0 && in1
_v_add_lshl_u32 v176, v3, v4, 0x1                  // scaleToBpe: accumulate d0 lower and *= bpe into Cin addr
v_cndmask_b32 v176, -1, v176, s[58:59]             // LDD clip if OOB. offset
/* (d1,vc1,d0,vc0)=(7,1,5,0) */
s_mov_b32 s54, 160                                 // coordOffset0 d0=5 vc0=0
_v_add_co_u32 v4, vcc, v0, s54                     // coord0.2: coord0 += d0*sg0*VW + vc0
v_cmp_lt_u32 s[54:55], v4, s[sgprSizeI]            // coord0 < size0
v_cmp_lt_u32 s[58:59], v1, s[sgprSizeJ]            // coord1 < size1
s_and_b64 s[58:59], s[54:55], s[58:59]             // in0 && in1
_v_add_lshl_u32 v178, v3, v4, 0x1                  // scaleToBpe: accumulate d0 lower and *= bpe into Cin addr
v_cndmask_b32 v178, -1, v178, s[58:59]             // LDD clip if OOB. offset
/* (d1,vc1,d0,vc0)=(7,1,6,0) */
s_mov_b32 s54, 192                                 // coordOffset0 d0=6 vc0=0
_v_add_co_u32 v4, vcc, v0, s54                     // coord0.2: coord0 += d0*sg0*VW + vc0
v_cmp_lt_u32 s[54:55], v4, s[sgprSizeI]            // coord0 < size0
v_cmp_lt_u32 s[58:59], v1, s[sgprSizeJ]            // coord1 < size1
s_and_b64 s[58:59], s[54:55], s[58:59]             // in0 && in1
_v_add_lshl_u32 v180, v3, v4, 0x1                  // scaleToBpe: accumulate d0 lower and *= bpe into Cin addr
v_cndmask_b32 v180, -1, v180, s[58:59]             // LDD clip if OOB. offset
/* (d1,vc1,d0,vc0)=(7,2,0,0) */
_v_add_co_u32 v1, vcc, v1, 1                       // coord1.1: coord1Vgpr += d1*sg1*VW + vc1

/* Fix for UseInitialStridesCD, emitAddressSetupCode */
_v_add_u32 v2, v2, s[sgprStrideC1J]                // ROWINC- Move cinRowPtr to next row
_v_add_u32 v3, v3, s[sgprStrideD1J]                // Move coutRowPtr to next row
	;; [unrolled: 57-line block ×3, first 2 shown]
v_cmp_lt_u32 s[54:55], v0, s[sgprSizeI]            // coord0 < size0
v_cmp_lt_u32 s[58:59], v1, s[sgprSizeJ]            // coord1 < size1
s_and_b64 s[58:59], s[54:55], s[58:59]             // in0 && in1
_v_add_lshl_u32 v196, v3, v0, 0x1                  // scaleToBpe: accumulate d0 lower and *= bpe into Cin addr
v_cndmask_b32 v196, -1, v196, s[58:59]             // LDD clip if OOB. offset
/* (d1,vc1,d0,vc0)=(7,3,1,0) */
_v_add_co_u32 v4, vcc, v0, 32                      // coord0.1: coord0 += d0*sg0*VW + vc0
v_cmp_lt_u32 s[54:55], v4, s[sgprSizeI]            // coord0 < size0
v_cmp_lt_u32 s[58:59], v1, s[sgprSizeJ]            // coord1 < size1
s_and_b64 s[58:59], s[54:55], s[58:59]             // in0 && in1
_v_add_lshl_u32 v198, v3, v4, 0x1                  // scaleToBpe: accumulate d0 lower and *= bpe into Cin addr
v_cndmask_b32 v198, -1, v198, s[58:59]             // LDD clip if OOB. offset
/* (d1,vc1,d0,vc0)=(7,3,2,0) */
_v_add_co_u32 v4, vcc, v0, 64                      // coord0.1: coord0 += d0*sg0*VW + vc0
v_cmp_lt_u32 s[54:55], v4, s[sgprSizeI]            // coord0 < size0
v_cmp_lt_u32 s[58:59], v1, s[sgprSizeJ]            // coord1 < size1
s_and_b64 s[58:59], s[54:55], s[58:59]             // in0 && in1
_v_add_lshl_u32 v200, v3, v4, 0x1                  // scaleToBpe: accumulate d0 lower and *= bpe into Cin addr
v_cndmask_b32 v200, -1, v200, s[58:59]             // LDD clip if OOB. offset
/* (d1,vc1,d0,vc0)=(7,3,3,0) */
s_mov_b32 s54, 96                                  // coordOffset0 d0=3 vc0=0
_v_add_co_u32 v4, vcc, v0, s54                     // coord0.2: coord0 += d0*sg0*VW + vc0
v_cmp_lt_u32 s[54:55], v4, s[sgprSizeI]            // coord0 < size0
v_cmp_lt_u32 s[58:59], v1, s[sgprSizeJ]            // coord1 < size1
s_and_b64 s[58:59], s[54:55], s[58:59]             // in0 && in1
_v_add_lshl_u32 v202, v3, v4, 0x1                  // scaleToBpe: accumulate d0 lower and *= bpe into Cin addr
v_cndmask_b32 v202, -1, v202, s[58:59]             // LDD clip if OOB. offset
/* (d1,vc1,d0,vc0)=(7,3,4,0) */
s_mov_b32 s54, 128                                 // coordOffset0 d0=4 vc0=0
_v_add_co_u32 v4, vcc, v0, s54                     // coord0.2: coord0 += d0*sg0*VW + vc0
v_cmp_lt_u32 s[54:55], v4, s[sgprSizeI]            // coord0 < size0
v_cmp_lt_u32 s[58:59], v1, s[sgprSizeJ]            // coord1 < size1
s_and_b64 s[58:59], s[54:55], s[58:59]             // in0 && in1
_v_add_lshl_u32 v204, v3, v4, 0x1                  // scaleToBpe: accumulate d0 lower and *= bpe into Cin addr
v_cndmask_b32 v204, -1, v204, s[58:59]             // LDD clip if OOB. offset
/* (d1,vc1,d0,vc0)=(7,3,5,0) */
s_mov_b32 s54, 160                                 // coordOffset0 d0=5 vc0=0
	;; [unrolled: 8-line block ×3, first 2 shown]
_v_add_co_u32 v4, vcc, v0, s54                     // coord0.2: coord0 += d0*sg0*VW + vc0
v_cmp_lt_u32 s[54:55], v4, s[sgprSizeI]            // coord0 < size0
v_cmp_lt_u32 s[58:59], v1, s[sgprSizeJ]            // coord1 < size1
s_and_b64 s[58:59], s[54:55], s[58:59]             // in0 && in1
_v_add_lshl_u32 v208, v3, v4, 0x1                  // scaleToBpe: accumulate d0 lower and *= bpe into Cin addr
v_cndmask_b32 v208, -1, v208, s[58:59]             // LDD clip if OOB. offset
v_accvgpr_read_b32 v[vgprValuC+7], acc125 // copy acc to vreg[122]
v_accvgpr_read_b32 v[vgprValuC+9], acc129 // copy acc to vreg[123]
v_accvgpr_read_b32 v[vgprValuC+11], acc133 // copy acc to vreg[124]
v_accvgpr_read_b32 v[vgprValuC+13], acc137 // copy acc to vreg[125]
v_accvgpr_read_b32 v[vgprValuC+15], acc114 // copy acc to vreg[126]
v_accvgpr_read_b32 v[vgprValuC+17], acc118 // copy acc to vreg[127]
v_accvgpr_read_b32 v[vgprValuC+19], acc122 // copy acc to vreg[128]
v_accvgpr_read_b32 v[vgprValuC+21], acc126 // copy acc to vreg[129]
v_accvgpr_read_b32 v[vgprValuC+23], acc130 // copy acc to vreg[130]
v_accvgpr_read_b32 v[vgprValuC+25], acc134 // copy acc to vreg[131]
v_accvgpr_read_b32 v[vgprValuC+27], acc138 // copy acc to vreg[132]
v_accvgpr_read_b32 v[vgprValuC+29], acc115 // copy acc to vreg[133]
v_accvgpr_read_b32 v[vgprValuC+31], acc119 // copy acc to vreg[134]
v_accvgpr_read_b32 v[vgprValuC+33], acc123 // copy acc to vreg[135]
v_accvgpr_read_b32 v[vgprValuC+35], acc127 // copy acc to vreg[136]
v_accvgpr_read_b32 v[vgprValuC+37], acc131 // copy acc to vreg[137]
v_accvgpr_read_b32 v[vgprValuC+39], acc135 // copy acc to vreg[138]
v_accvgpr_read_b32 v[vgprValuC+41], acc139 // copy acc to vreg[139]
v_accvgpr_read_b32 v[vgprValuC+43], acc140 // copy acc to vreg[140]
v_accvgpr_read_b32 v[vgprValuC+45], acc144 // copy acc to vreg[141]
v_accvgpr_read_b32 v[vgprValuC+47], acc148 // copy acc to vreg[142]
v_accvgpr_read_b32 v[vgprValuC+49], acc152 // copy acc to vreg[143]
v_accvgpr_read_b32 v[vgprValuC+51], acc156 // copy acc to vreg[144]
v_accvgpr_read_b32 v[vgprValuC+53], acc160 // copy acc to vreg[145]
v_accvgpr_read_b32 v[vgprValuC+55], acc164 // copy acc to vreg[146]
v_accvgpr_read_b32 v[vgprValuC+57], acc141 // copy acc to vreg[147]
v_accvgpr_read_b32 v[vgprValuC+59], acc145 // copy acc to vreg[148]
v_accvgpr_read_b32 v[vgprValuC+61], acc149 // copy acc to vreg[149]
v_accvgpr_read_b32 v[vgprValuC+63], acc153 // copy acc to vreg[150]
v_accvgpr_read_b32 v[vgprValuC+65], acc157 // copy acc to vreg[151]
v_accvgpr_read_b32 v[vgprValuC+67], acc161 // copy acc to vreg[152]
v_accvgpr_read_b32 v[vgprValuC+69], acc165 // copy acc to vreg[153]
v_accvgpr_read_b32 v[vgprValuC+71], acc142 // copy acc to vreg[154]
v_accvgpr_read_b32 v[vgprValuC+73], acc146 // copy acc to vreg[155]
v_accvgpr_read_b32 v[vgprValuC+75], acc150 // copy acc to vreg[156]
v_accvgpr_read_b32 v[vgprValuC+77], acc154 // copy acc to vreg[157]
v_accvgpr_read_b32 v[vgprValuC+79], acc158 // copy acc to vreg[158]
v_accvgpr_read_b32 v[vgprValuC+81], acc162 // copy acc to vreg[159]
v_accvgpr_read_b32 v[vgprValuC+83], acc166 // copy acc to vreg[160]
v_accvgpr_read_b32 v[vgprValuC+85], acc143 // copy acc to vreg[161]
v_accvgpr_read_b32 v[vgprValuC+87], acc147 // copy acc to vreg[162]
v_accvgpr_read_b32 v[vgprValuC+89], acc151 // copy acc to vreg[163]
v_accvgpr_read_b32 v[vgprValuC+91], acc155 // copy acc to vreg[164]
v_accvgpr_read_b32 v[vgprValuC+93], acc159 // copy acc to vreg[165]
v_accvgpr_read_b32 v[vgprValuC+95], acc163 // copy acc to vreg[166]
v_accvgpr_read_b32 v[vgprValuC+97], acc167 // copy acc to vreg[167]
v_accvgpr_read_b32 v[vgprValuC+99], acc168 // copy acc to vreg[168]
v_accvgpr_read_b32 v[vgprValuC+101], acc172 // copy acc to vreg[169]
v_accvgpr_read_b32 v[vgprValuC+103], acc176 // copy acc to vreg[170]
v_accvgpr_read_b32 v[vgprValuC+105], acc180 // copy acc to vreg[171]
v_accvgpr_read_b32 v[vgprValuC+107], acc184 // copy acc to vreg[172]
v_accvgpr_read_b32 v[vgprValuC+109], acc188 // copy acc to vreg[173]
v_accvgpr_read_b32 v[vgprValuC+111], acc192 // copy acc to vreg[174]
v_accvgpr_read_b32 v[vgprValuC+113], acc169 // copy acc to vreg[175]
v_accvgpr_read_b32 v[vgprValuC+115], acc173 // copy acc to vreg[176]
v_accvgpr_read_b32 v[vgprValuC+117], acc177 // copy acc to vreg[177]
v_accvgpr_read_b32 v[vgprValuC+119], acc181 // copy acc to vreg[178]
v_accvgpr_read_b32 v[vgprValuC+121], acc185 // copy acc to vreg[179]
v_accvgpr_read_b32 v[vgprValuC+123], acc189 // copy acc to vreg[180]
v_accvgpr_read_b32 v[vgprValuC+125], acc193 // copy acc to vreg[181]
v_accvgpr_read_b32 v[vgprValuC+127], acc170 // copy acc to vreg[182]
v_accvgpr_read_b32 v[vgprValuC+129], acc174 // copy acc to vreg[183]
v_accvgpr_read_b32 v[vgprValuC+131], acc178 // copy acc to vreg[184]
v_accvgpr_read_b32 v[vgprValuC+133], acc182 // copy acc to vreg[185]
v_accvgpr_read_b32 v[vgprValuC+135], acc186 // copy acc to vreg[186]
v_accvgpr_read_b32 v[vgprValuC+137], acc190 // copy acc to vreg[187]
v_accvgpr_read_b32 v[vgprValuC+139], acc194 // copy acc to vreg[188]
v_accvgpr_read_b32 v[vgprValuC+141], acc171 // copy acc to vreg[189]
v_accvgpr_read_b32 v[vgprValuC+143], acc175 // copy acc to vreg[190]
v_accvgpr_read_b32 v[vgprValuC+145], acc179 // copy acc to vreg[191]
v_accvgpr_read_b32 v[vgprValuC+147], acc183 // copy acc to vreg[192]
v_accvgpr_read_b32 v[vgprValuC+149], acc187 // copy acc to vreg[193]
v_accvgpr_read_b32 v[vgprValuC+151], acc191 // copy acc to vreg[194]
v_accvgpr_read_b32 v[vgprValuC+153], acc195 // copy acc to vreg[195]
v_accvgpr_read_b32 v[vgprValuC+155], acc196 // copy acc to vreg[196]
v_accvgpr_read_b32 v[vgprValuC+157], acc200 // copy acc to vreg[197]
v_accvgpr_read_b32 v[vgprValuC+159], acc204 // copy acc to vreg[198]
v_accvgpr_read_b32 v[vgprValuC+161], acc208 // copy acc to vreg[199]
v_accvgpr_read_b32 v[vgprValuC+163], acc212 // copy acc to vreg[200]
v_accvgpr_read_b32 v[vgprValuC+165], acc216 // copy acc to vreg[201]
v_accvgpr_read_b32 v[vgprValuC+167], acc220 // copy acc to vreg[202]
v_accvgpr_read_b32 v[vgprValuC+169], acc197 // copy acc to vreg[203]
v_accvgpr_read_b32 v[vgprValuC+171], acc201 // copy acc to vreg[204]
v_accvgpr_read_b32 v[vgprValuC+173], acc205 // copy acc to vreg[205]
v_accvgpr_read_b32 v[vgprValuC+175], acc209 // copy acc to vreg[206]
v_accvgpr_read_b32 v[vgprValuC+177], acc213 // copy acc to vreg[207]
v_accvgpr_read_b32 v[vgprValuC+179], acc217 // copy acc to vreg[208]
v_accvgpr_read_b32 v[vgprValuC+181], acc221 // copy acc to vreg[209]
v_accvgpr_read_b32 v[vgprValuC+183], acc198 // copy acc to vreg[210]
v_accvgpr_read_b32 v[vgprValuC+185], acc202 // copy acc to vreg[211]
v_accvgpr_read_b32 v[vgprValuC+187], acc206 // copy acc to vreg[212]
v_accvgpr_read_b32 v[vgprValuC+189], acc210 // copy acc to vreg[213]
v_accvgpr_read_b32 v[vgprValuC+191], acc214 // copy acc to vreg[214]
v_accvgpr_read_b32 v[vgprValuC+193], acc218 // copy acc to vreg[215]
v_accvgpr_read_b32 v[vgprValuC+195], acc222 // copy acc to vreg[216]
v_accvgpr_read_b32 v[vgprValuC+197], acc199 // copy acc to vreg[217]
v_accvgpr_read_b32 v[vgprValuC+199], acc203 // copy acc to vreg[218]
v_accvgpr_read_b32 v[vgprValuC+201], acc207 // copy acc to vreg[219]
v_accvgpr_read_b32 v[vgprValuC+203], acc211 // copy acc to vreg[220]
v_accvgpr_read_b32 v[vgprValuC+205], acc215 // copy acc to vreg[221]
v_accvgpr_read_b32 v[vgprValuC+207], acc219 // copy acc to vreg[222]
v_accvgpr_read_b32 v[vgprValuC+209], acc223 // copy acc to vreg[223]
s_nop 1                                            // 2 wait states required before reading vgpr

/* rC *= alpha batchElements=[(4, 3, 1, 0), (4, 4, 1, 0), (4, 5, 1, 0), (4, 6, 1, 0), (4, 0, 2, 0), (4, 1, 2, 0), (4, 2, 2, 0), (4, 3, 2, 0), (4, 4, 2, 0), (4, 5, 2, 0), (4, 6, 2, 0), (4, 0, 3, 0), (4, 1, 3, 0), (4, 2, 3, 0), (4, 3, 3, 0), (4, 4, 3, 0), (4, 5, 3, 0), (4, 6, 3, 0), (5, 0, 0, 0), (5, 1, 0, 0), (5, 2, 0, 0), (5, 3, 0, 0), (5, 4, 0, 0), (5, 5, 0, 0), (5, 6, 0, 0), (5, 0, 1, 0), (5, 1, 1, 0), (5, 2, 1, 0), (5, 3, 1, 0), (5, 4, 1, 0), (5, 5, 1, 0), (5, 6, 1, 0), (5, 0, 2, 0), (5, 1, 2, 0), (5, 2, 2, 0), (5, 3, 2, 0), (5, 4, 2, 0), (5, 5, 2, 0), (5, 6, 2, 0), (5, 0, 3, 0), (5, 1, 3, 0), (5, 2, 3, 0), (5, 3, 3, 0), (5, 4, 3, 0), (5, 5, 3, 0), (5, 6, 3, 0), (6, 0, 0, 0), (6, 1, 0, 0), (6, 2, 0, 0), (6, 3, 0, 0), (6, 4, 0, 0), (6, 5, 0, 0), (6, 6, 0, 0), (6, 0, 1, 0), (6, 1, 1, 0), (6, 2, 1, 0), (6, 3, 1, 0), (6, 4, 1, 0), (6, 5, 1, 0), (6, 6, 1, 0), (6, 0, 2, 0), (6, 1, 2, 0), (6, 2, 2, 0), (6, 3, 2, 0), (6, 4, 2, 0), (6, 5, 2, 0), (6, 6, 2, 0), (6, 0, 3, 0), (6, 1, 3, 0), (6, 2, 3, 0), (6, 3, 3, 0), (6, 4, 3, 0), (6, 5, 3, 0), (6, 6, 3, 0), (7, 0, 0, 0), (7, 1, 0, 0), (7, 2, 0, 0), (7, 3, 0, 0), (7, 4, 0, 0), (7, 5, 0, 0), (7, 6, 0, 0), (7, 0, 1, 0), (7, 1, 1, 0), (7, 2, 1, 0), (7, 3, 1, 0), (7, 4, 1, 0), (7, 5, 1, 0), (7, 6, 1, 0), (7, 0, 2, 0), (7, 1, 2, 0), (7, 2, 2, 0), (7, 3, 2, 0), (7, 4, 2, 0), (7, 5, 2, 0), (7, 6, 2, 0), (7, 0, 3, 0), (7, 1, 3, 0), (7, 2, 3, 0), (7, 3, 3, 0), (7, 4, 3, 0), (7, 5, 3, 0), (7, 6, 3, 0)] */
v_mul_f32 v[vgprValuC+7], s[sgprAlpha], v[vgprValuC+7] // *= alpha
v_mul_f32 v[vgprValuC+9], s[sgprAlpha], v[vgprValuC+9] // *= alpha
	;; [unrolled: 1-line block ×102, first 2 shown]

/* apply mask, calc new C and issue writes */
v_cvt_f16_f32 v[vgprValuC+7], v[vgprValuC+7]       // convert C to fp16
_buffer_store_b16 v7, v6, s[sgprSrdD:sgprSrdD+3], 0, offen, offset:0,  sc0 sc1 // store D
v_cvt_f16_f32 v[vgprValuC+9], v[vgprValuC+9]       // convert C to fp16
_buffer_store_b16 v9, v8, s[sgprSrdD:sgprSrdD+3], 0, offen, offset:0,  sc0 sc1 // store D
v_cvt_f16_f32 v[vgprValuC+11], v[vgprValuC+11]     // convert C to fp16
_buffer_store_b16 v11, v10, s[sgprSrdD:sgprSrdD+3], 0, offen, offset:0,  sc0 sc1 // store D
v_cvt_f16_f32 v[vgprValuC+13], v[vgprValuC+13]     // convert C to fp16
	;; [unrolled: 2-line block ×45, first 2 shown]
_buffer_store_b16 v99, v98, s[sgprSrdD:sgprSrdD+3], 0, offen, offset:0,  sc0 sc1 // store D
v_cvt_f16_f32 v[vgprValuC+101], v[vgprValuC+101]   // convert C to fp16
_buffer_store_b16 v101, v100, s[sgprSrdD:sgprSrdD+3], 0, offen, offset:0,  sc0 sc1 // store D
v_cvt_f16_f32 v[vgprValuC+103], v[vgprValuC+103]   // convert C to fp16
	;; [unrolled: 2-line block ×55, first 2 shown]
_buffer_store_b16 v209, v208, s[sgprSrdD:sgprSrdD+3], 0, offen, offset:0,  sc0 sc1 // store D
s_nop 0                                            // 1 wait state required when next inst writes vgprs held by previous dwordx4 store inst
s_branch label_GW_End_44                           // jump to end
GW_Beta_45:
s_mov_b32 s57, 0x0                                 // STATIC_DIV: divisior=224
s_mul_i32 s56, 0x249, s[sgprSizeI]                 // tmp1 = dividend * magic hi
s_lshl_b64 s[56:57], s[56:57], 0x10                // left shift 16 bits
s_mul_i32 s55, s[sgprSizeI], 0x2493                // tmp0 = dividend * magic lo
s_add_u32 s56, s55, s56                            // add lo
s_addc_u32 s57, s57, 0x0                           // add hi
s_lshr_b64 s[56:57], s[56:57], 0x21                // tmp1 = (dividend * magic) << shift
s_mov_b32 s55, s56                                 // quotient
s_mul_i32 s56, s55, 0xe0                           // quotient*divisor
s_sub_u32 s54, s[sgprSizeI], s56                   // rReg = dividend - quotient*divisor
s_add_u32 s55, -0x1, s[sgprNumWorkGroups0]         // 
s_cmp_ge_u32 s[sgprWorkGroup0], s55                // wg0 >= nwg0-1 ?
s_cselect_b32 s54, s54, 0                          // set rMT0
s_cmpk_gt_u32 s54, 0x0                             // rMT0 > 0
s_cbranch_scc1 GW_B1_E1_43                         // jump if edges required
s_and_b32 s54, 255, s[sgprSizeJ]                   // s54 = s[sgprSizeJ] % 256
s_add_u32 s55, -0x1, s[sgprNumWorkGroups1]         // 
s_cmp_ge_u32 s[sgprWorkGroup1], s55                // wg1 >= nwg1-1
s_cselect_b32 s54, s54, 0                          // set rMT1
s_cmpk_gt_u32 s54, 0x0                             // rMT1 > 0
s_cbranch_scc1 GW_B1_E1_43                         // jump if edges required
GW_B1_E0_40:

/* edge=0, allocate 2 sgpr. perBatchTmpS=2 perBatchMaskS=0 perElementMaskS=0 elementsPerBatch=122 */
/* optSingleColVgpr=1 optSharedColVgpr=0 optSGPRUsage=BufferLoad_Mask optSrdIncForRow=1 */
s_sleep 5 // optimization: sync and wait
s_barrier

/******************************************/
/* Global Write Alpha Beta Batch #0 (d1,d0,vc1,vc0) = */
/*    (0,0,0,0:vw1); (0,1,0,0:vw1); (0,2,0,0:vw1); (0,3,0,0:vw1); (0,4,0,0:vw1); (0,5,0,0:vw1); (0,6,0,0:vw1); (0,0,1,0:vw1); (0,1,1,0:vw1); (0,2,1,0:vw1); (0,3,1,0:vw1); (0,4,1,0:vw1); (0,5,1,0:vw1); (0,6,1,0:vw1); (0,0,2,0:vw1); (0,1,2,0:vw1); (0,2,2,0:vw1); (0,3,2,0:vw1); (0,4,2,0:vw1); (0,5,2,0:vw1); (0,6,2,0:vw1); (0,0,3,0:vw1); (0,1,3,0:vw1); (0,2,3,0:vw1); (0,3,3,0:vw1); (0,4,3,0:vw1); (0,5,3,0:vw1); (0,6,3,0:vw1); (1,0,0,0:vw1); (1,1,0,0:vw1); (1,2,0,0:vw1); (1,3,0,0:vw1); (1,4,0,0:vw1); (1,5,0,0:vw1); (1,6,0,0:vw1); (1,0,1,0:vw1); (1,1,1,0:vw1); (1,2,1,0:vw1); (1,3,1,0:vw1); (1,4,1,0:vw1); (1,5,1,0:vw1); (1,6,1,0:vw1); (1,0,2,0:vw1); (1,1,2,0:vw1); (1,2,2,0:vw1); (1,3,2,0:vw1); (1,4,2,0:vw1); (1,5,2,0:vw1); (1,6,2,0:vw1); (1,0,3,0:vw1); (1,1,3,0:vw1); (1,2,3,0:vw1); (1,3,3,0:vw1); (1,4,3,0:vw1); (1,5,3,0:vw1); (1,6,3,0:vw1); (2,0,0,0:vw1); (2,1,0,0:vw1); (2,2,0,0:vw1); (2,3,0,0:vw1); (2,4,0,0:vw1); (2,5,0,0:vw1); (2,6,0,0:vw1); (2,0,1,0:vw1); (2,1,1,0:vw1); (2,2,1,0:vw1); (2,3,1,0:vw1); (2,4,1,0:vw1); (2,5,1,0:vw1); (2,6,1,0:vw1); (2,0,2,0:vw1); (2,1,2,0:vw1); (2,2,2,0:vw1); (2,3,2,0:vw1); (2,4,2,0:vw1); (2,5,2,0:vw1); (2,6,2,0:vw1); (2,0,3,0:vw1); (2,1,3,0:vw1); (2,2,3,0:vw1); (2,3,3,0:vw1); (2,4,3,0:vw1); (2,5,3,0:vw1); (2,6,3,0:vw1); (3,0,0,0:vw1); (3,1,0,0:vw1); (3,2,0,0:vw1); (3,3,0,0:vw1); (3,4,0,0:vw1); (3,5,0,0:vw1); (3,6,0,0:vw1); (3,0,1,0:vw1); (3,1,1,0:vw1); (3,2,1,0:vw1); (3,3,1,0:vw1); (3,4,1,0:vw1); (3,5,1,0:vw1); (3,6,1,0:vw1); (3,0,2,0:vw1); (3,1,2,0:vw1); (3,2,2,0:vw1); (3,3,2,0:vw1); (3,4,2,0:vw1); (3,5,2,0:vw1); (3,6,2,0:vw1); (3,0,3,0:vw1); (3,1,3,0:vw1); (3,2,3,0:vw1); (3,3,3,0:vw1); (3,4,3,0:vw1); (3,5,3,0:vw1); (3,6,3,0:vw1); (4,0,0,0:vw1); (4,1,0,0:vw1); (4,2,0,0:vw1); (4,3,0,0:vw1); (4,4,0,0:vw1); (4,5,0,0:vw1); (4,6,0,0:vw1); (4,0,1,0:vw1); (4,1,1,0:vw1); (4,2,1,0:vw1) */
/******************************************/

/* calc coords, apply mask, and issue loads (if necessary) */
/* (d1,vc1,d0,vc0)=(0,0,0,0) */
_v_add_lshl_u32 v7, v2, v0, 0x1                    // optSingleColVgpr scaleToBpe: sharedAddrVgpr <- cinRowPtr + coord0, scaled by BPE. BSHERE:coord0=0, coord0Vgpr=0
_buffer_load_d16_b16 v8, v7, s[sgprSrdC:sgprSrdC+3], 0, offen offset:0,  sc0 sc1 // load C for beta calc
/* (d1,vc1,d0,vc0)=(0,0,1,0) */
_buffer_load_d16_b16 v10, v7, s[sgprSrdC:sgprSrdC+3], 0, offen offset:64,  sc0 sc1 // load C for beta calc
/* (d1,vc1,d0,vc0)=(0,0,2,0) */
_buffer_load_d16_b16 v12, v7, s[sgprSrdC:sgprSrdC+3], 0, offen offset:128,  sc0 sc1 // load C for beta calc
/* (d1,vc1,d0,vc0)=(0,0,3,0) */
_buffer_load_d16_b16 v14, v7, s[sgprSrdC:sgprSrdC+3], 0, offen offset:192,  sc0 sc1 // load C for beta calc
/* (d1,vc1,d0,vc0)=(0,0,4,0) */
_buffer_load_d16_b16 v16, v7, s[sgprSrdC:sgprSrdC+3], 0, offen offset:256,  sc0 sc1 // load C for beta calc
/* (d1,vc1,d0,vc0)=(0,0,5,0) */
_buffer_load_d16_b16 v18, v7, s[sgprSrdC:sgprSrdC+3], 0, offen offset:320,  sc0 sc1 // load C for beta calc
/* (d1,vc1,d0,vc0)=(0,0,6,0) */
_buffer_load_d16_b16 v20, v7, s[sgprSrdC:sgprSrdC+3], 0, offen offset:384,  sc0 sc1 // load C for beta calc
/* (d1,vc1,d0,vc0)=(0,1,0,0) */
s_lshl_b32  s54, s[sgprStrideC1J], 1               // incToNextRow: Scale by BPE
s_add_u32  s[sgprSrdC+0], s[sgprSrdC+0], s54       // incToNextRow: gra SRD += inc(lower)
s_addc_u32  s[sgprSrdC+1], s[sgprSrdC+1], 0        // incToNextRow: gra SRD += inc(upper)
_buffer_load_d16_b16 v22, v7, s[sgprSrdC:sgprSrdC+3], 0, offen offset:0,  sc0 sc1 // load C for beta calc
/* (d1,vc1,d0,vc0)=(0,1,1,0) */
_buffer_load_d16_b16 v24, v7, s[sgprSrdC:sgprSrdC+3], 0, offen offset:64,  sc0 sc1 // load C for beta calc
/* (d1,vc1,d0,vc0)=(0,1,2,0) */
_buffer_load_d16_b16 v26, v7, s[sgprSrdC:sgprSrdC+3], 0, offen offset:128,  sc0 sc1 // load C for beta calc
/* (d1,vc1,d0,vc0)=(0,1,3,0) */
_buffer_load_d16_b16 v28, v7, s[sgprSrdC:sgprSrdC+3], 0, offen offset:192,  sc0 sc1 // load C for beta calc
/* (d1,vc1,d0,vc0)=(0,1,4,0) */
_buffer_load_d16_b16 v30, v7, s[sgprSrdC:sgprSrdC+3], 0, offen offset:256,  sc0 sc1 // load C for beta calc
/* (d1,vc1,d0,vc0)=(0,1,5,0) */
_buffer_load_d16_b16 v32, v7, s[sgprSrdC:sgprSrdC+3], 0, offen offset:320,  sc0 sc1 // load C for beta calc
/* (d1,vc1,d0,vc0)=(0,1,6,0) */
_buffer_load_d16_b16 v34, v7, s[sgprSrdC:sgprSrdC+3], 0, offen offset:384,  sc0 sc1 // load C for beta calc
/* (d1,vc1,d0,vc0)=(0,2,0,0) */
s_lshl_b32  s54, s[sgprStrideC1J], 1               // incToNextRow: Scale by BPE
s_add_u32  s[sgprSrdC+0], s[sgprSrdC+0], s54       // incToNextRow: gra SRD += inc(lower)
s_addc_u32  s[sgprSrdC+1], s[sgprSrdC+1], 0        // incToNextRow: gra SRD += inc(upper)
	;; [unrolled: 17-line block ×3, first 2 shown]
_buffer_load_d16_b16 v50, v7, s[sgprSrdC:sgprSrdC+3], 0, offen offset:0,  sc0 sc1 // load C for beta calc
/* (d1,vc1,d0,vc0)=(0,3,1,0) */
_buffer_load_d16_b16 v52, v7, s[sgprSrdC:sgprSrdC+3], 0, offen offset:64,  sc0 sc1 // load C for beta calc
/* (d1,vc1,d0,vc0)=(0,3,2,0) */
	;; [unrolled: 2-line block ×7, first 2 shown]
s_mul_i32 s54, s[sgprStrideC1J], 58                // scale StrideC *= numRows(29) * bpe
s_add_u32  s[sgprSrdC+0], s[sgprSrdC+0], s54       // incToNextRow: gra SRD += inc(lower)
s_addc_u32  s[sgprSrdC+1], s[sgprSrdC+1], 0        // incToNextRow: gra SRD += inc(upper)
_buffer_load_d16_b16 v64, v7, s[sgprSrdC:sgprSrdC+3], 0, offen offset:0,  sc0 sc1 // load C for beta calc
/* (d1,vc1,d0,vc0)=(1,0,1,0) */
_buffer_load_d16_b16 v66, v7, s[sgprSrdC:sgprSrdC+3], 0, offen offset:64,  sc0 sc1 // load C for beta calc
/* (d1,vc1,d0,vc0)=(1,0,2,0) */
_buffer_load_d16_b16 v68, v7, s[sgprSrdC:sgprSrdC+3], 0, offen offset:128,  sc0 sc1 // load C for beta calc
/* (d1,vc1,d0,vc0)=(1,0,3,0) */
_buffer_load_d16_b16 v70, v7, s[sgprSrdC:sgprSrdC+3], 0, offen offset:192,  sc0 sc1 // load C for beta calc
/* (d1,vc1,d0,vc0)=(1,0,4,0) */
_buffer_load_d16_b16 v72, v7, s[sgprSrdC:sgprSrdC+3], 0, offen offset:256,  sc0 sc1 // load C for beta calc
/* (d1,vc1,d0,vc0)=(1,0,5,0) */
_buffer_load_d16_b16 v74, v7, s[sgprSrdC:sgprSrdC+3], 0, offen offset:320,  sc0 sc1 // load C for beta calc
/* (d1,vc1,d0,vc0)=(1,0,6,0) */
_buffer_load_d16_b16 v76, v7, s[sgprSrdC:sgprSrdC+3], 0, offen offset:384,  sc0 sc1 // load C for beta calc
/* (d1,vc1,d0,vc0)=(1,1,0,0) */
s_lshl_b32  s54, s[sgprStrideC1J], 1               // incToNextRow: Scale by BPE
s_add_u32  s[sgprSrdC+0], s[sgprSrdC+0], s54       // incToNextRow: gra SRD += inc(lower)
s_addc_u32  s[sgprSrdC+1], s[sgprSrdC+1], 0        // incToNextRow: gra SRD += inc(upper)
_buffer_load_d16_b16 v78, v7, s[sgprSrdC:sgprSrdC+3], 0, offen offset:0,  sc0 sc1 // load C for beta calc
/* (d1,vc1,d0,vc0)=(1,1,1,0) */
_buffer_load_d16_b16 v80, v7, s[sgprSrdC:sgprSrdC+3], 0, offen offset:64,  sc0 sc1 // load C for beta calc
/* (d1,vc1,d0,vc0)=(1,1,2,0) */
_buffer_load_d16_b16 v82, v7, s[sgprSrdC:sgprSrdC+3], 0, offen offset:128,  sc0 sc1 // load C for beta calc
/* (d1,vc1,d0,vc0)=(1,1,3,0) */
_buffer_load_d16_b16 v84, v7, s[sgprSrdC:sgprSrdC+3], 0, offen offset:192,  sc0 sc1 // load C for beta calc
/* (d1,vc1,d0,vc0)=(1,1,4,0) */
_buffer_load_d16_b16 v86, v7, s[sgprSrdC:sgprSrdC+3], 0, offen offset:256,  sc0 sc1 // load C for beta calc
/* (d1,vc1,d0,vc0)=(1,1,5,0) */
_buffer_load_d16_b16 v88, v7, s[sgprSrdC:sgprSrdC+3], 0, offen offset:320,  sc0 sc1 // load C for beta calc
/* (d1,vc1,d0,vc0)=(1,1,6,0) */
_buffer_load_d16_b16 v90, v7, s[sgprSrdC:sgprSrdC+3], 0, offen offset:384,  sc0 sc1 // load C for beta calc
/* (d1,vc1,d0,vc0)=(1,2,0,0) */
s_lshl_b32  s54, s[sgprStrideC1J], 1               // incToNextRow: Scale by BPE
	;; [unrolled: 17-line block ×3, first 2 shown]
s_add_u32  s[sgprSrdC+0], s[sgprSrdC+0], s54       // incToNextRow: gra SRD += inc(lower)
s_addc_u32  s[sgprSrdC+1], s[sgprSrdC+1], 0        // incToNextRow: gra SRD += inc(upper)
_buffer_load_d16_b16 v106, v7, s[sgprSrdC:sgprSrdC+3], 0, offen offset:0,  sc0 sc1 // load C for beta calc
/* (d1,vc1,d0,vc0)=(1,3,1,0) */
_buffer_load_d16_b16 v108, v7, s[sgprSrdC:sgprSrdC+3], 0, offen offset:64,  sc0 sc1 // load C for beta calc
/* (d1,vc1,d0,vc0)=(1,3,2,0) */
	;; [unrolled: 2-line block ×7, first 2 shown]
s_mul_i32 s54, s[sgprStrideC1J], 58                // scale StrideC *= numRows(29) * bpe
s_add_u32  s[sgprSrdC+0], s[sgprSrdC+0], s54       // incToNextRow: gra SRD += inc(lower)
s_addc_u32  s[sgprSrdC+1], s[sgprSrdC+1], 0        // incToNextRow: gra SRD += inc(upper)
_buffer_load_d16_b16 v120, v7, s[sgprSrdC:sgprSrdC+3], 0, offen offset:0,  sc0 sc1 // load C for beta calc
/* (d1,vc1,d0,vc0)=(2,0,1,0) */
_buffer_load_d16_b16 v122, v7, s[sgprSrdC:sgprSrdC+3], 0, offen offset:64,  sc0 sc1 // load C for beta calc
/* (d1,vc1,d0,vc0)=(2,0,2,0) */
_buffer_load_d16_b16 v124, v7, s[sgprSrdC:sgprSrdC+3], 0, offen offset:128,  sc0 sc1 // load C for beta calc
/* (d1,vc1,d0,vc0)=(2,0,3,0) */
_buffer_load_d16_b16 v126, v7, s[sgprSrdC:sgprSrdC+3], 0, offen offset:192,  sc0 sc1 // load C for beta calc
/* (d1,vc1,d0,vc0)=(2,0,4,0) */
_buffer_load_d16_b16 v128, v7, s[sgprSrdC:sgprSrdC+3], 0, offen offset:256,  sc0 sc1 // load C for beta calc
/* (d1,vc1,d0,vc0)=(2,0,5,0) */
_buffer_load_d16_b16 v130, v7, s[sgprSrdC:sgprSrdC+3], 0, offen offset:320,  sc0 sc1 // load C for beta calc
/* (d1,vc1,d0,vc0)=(2,0,6,0) */
_buffer_load_d16_b16 v132, v7, s[sgprSrdC:sgprSrdC+3], 0, offen offset:384,  sc0 sc1 // load C for beta calc
/* (d1,vc1,d0,vc0)=(2,1,0,0) */
s_lshl_b32  s54, s[sgprStrideC1J], 1               // incToNextRow: Scale by BPE
s_add_u32  s[sgprSrdC+0], s[sgprSrdC+0], s54       // incToNextRow: gra SRD += inc(lower)
s_addc_u32  s[sgprSrdC+1], s[sgprSrdC+1], 0        // incToNextRow: gra SRD += inc(upper)
_buffer_load_d16_b16 v134, v7, s[sgprSrdC:sgprSrdC+3], 0, offen offset:0,  sc0 sc1 // load C for beta calc
/* (d1,vc1,d0,vc0)=(2,1,1,0) */
_buffer_load_d16_b16 v136, v7, s[sgprSrdC:sgprSrdC+3], 0, offen offset:64,  sc0 sc1 // load C for beta calc
/* (d1,vc1,d0,vc0)=(2,1,2,0) */
_buffer_load_d16_b16 v138, v7, s[sgprSrdC:sgprSrdC+3], 0, offen offset:128,  sc0 sc1 // load C for beta calc
/* (d1,vc1,d0,vc0)=(2,1,3,0) */
_buffer_load_d16_b16 v140, v7, s[sgprSrdC:sgprSrdC+3], 0, offen offset:192,  sc0 sc1 // load C for beta calc
/* (d1,vc1,d0,vc0)=(2,1,4,0) */
_buffer_load_d16_b16 v142, v7, s[sgprSrdC:sgprSrdC+3], 0, offen offset:256,  sc0 sc1 // load C for beta calc
/* (d1,vc1,d0,vc0)=(2,1,5,0) */
_buffer_load_d16_b16 v144, v7, s[sgprSrdC:sgprSrdC+3], 0, offen offset:320,  sc0 sc1 // load C for beta calc
/* (d1,vc1,d0,vc0)=(2,1,6,0) */
_buffer_load_d16_b16 v146, v7, s[sgprSrdC:sgprSrdC+3], 0, offen offset:384,  sc0 sc1 // load C for beta calc
/* (d1,vc1,d0,vc0)=(2,2,0,0) */
s_lshl_b32  s54, s[sgprStrideC1J], 1               // incToNextRow: Scale by BPE
	;; [unrolled: 17-line block ×3, first 2 shown]
s_add_u32  s[sgprSrdC+0], s[sgprSrdC+0], s54       // incToNextRow: gra SRD += inc(lower)
s_addc_u32  s[sgprSrdC+1], s[sgprSrdC+1], 0        // incToNextRow: gra SRD += inc(upper)
_buffer_load_d16_b16 v162, v7, s[sgprSrdC:sgprSrdC+3], 0, offen offset:0,  sc0 sc1 // load C for beta calc
/* (d1,vc1,d0,vc0)=(2,3,1,0) */
_buffer_load_d16_b16 v164, v7, s[sgprSrdC:sgprSrdC+3], 0, offen offset:64,  sc0 sc1 // load C for beta calc
/* (d1,vc1,d0,vc0)=(2,3,2,0) */
	;; [unrolled: 2-line block ×7, first 2 shown]
s_mul_i32 s54, s[sgprStrideC1J], 58                // scale StrideC *= numRows(29) * bpe
s_add_u32  s[sgprSrdC+0], s[sgprSrdC+0], s54       // incToNextRow: gra SRD += inc(lower)
s_addc_u32  s[sgprSrdC+1], s[sgprSrdC+1], 0        // incToNextRow: gra SRD += inc(upper)
_buffer_load_d16_b16 v176, v7, s[sgprSrdC:sgprSrdC+3], 0, offen offset:0,  sc0 sc1 // load C for beta calc
/* (d1,vc1,d0,vc0)=(3,0,1,0) */
_buffer_load_d16_b16 v178, v7, s[sgprSrdC:sgprSrdC+3], 0, offen offset:64,  sc0 sc1 // load C for beta calc
/* (d1,vc1,d0,vc0)=(3,0,2,0) */
_buffer_load_d16_b16 v180, v7, s[sgprSrdC:sgprSrdC+3], 0, offen offset:128,  sc0 sc1 // load C for beta calc
/* (d1,vc1,d0,vc0)=(3,0,3,0) */
_buffer_load_d16_b16 v182, v7, s[sgprSrdC:sgprSrdC+3], 0, offen offset:192,  sc0 sc1 // load C for beta calc
/* (d1,vc1,d0,vc0)=(3,0,4,0) */
_buffer_load_d16_b16 v184, v7, s[sgprSrdC:sgprSrdC+3], 0, offen offset:256,  sc0 sc1 // load C for beta calc
/* (d1,vc1,d0,vc0)=(3,0,5,0) */
_buffer_load_d16_b16 v186, v7, s[sgprSrdC:sgprSrdC+3], 0, offen offset:320,  sc0 sc1 // load C for beta calc
/* (d1,vc1,d0,vc0)=(3,0,6,0) */
_buffer_load_d16_b16 v188, v7, s[sgprSrdC:sgprSrdC+3], 0, offen offset:384,  sc0 sc1 // load C for beta calc
/* (d1,vc1,d0,vc0)=(3,1,0,0) */
s_lshl_b32  s54, s[sgprStrideC1J], 1               // incToNextRow: Scale by BPE
s_add_u32  s[sgprSrdC+0], s[sgprSrdC+0], s54       // incToNextRow: gra SRD += inc(lower)
s_addc_u32  s[sgprSrdC+1], s[sgprSrdC+1], 0        // incToNextRow: gra SRD += inc(upper)
_buffer_load_d16_b16 v190, v7, s[sgprSrdC:sgprSrdC+3], 0, offen offset:0,  sc0 sc1 // load C for beta calc
/* (d1,vc1,d0,vc0)=(3,1,1,0) */
_buffer_load_d16_b16 v192, v7, s[sgprSrdC:sgprSrdC+3], 0, offen offset:64,  sc0 sc1 // load C for beta calc
/* (d1,vc1,d0,vc0)=(3,1,2,0) */
_buffer_load_d16_b16 v194, v7, s[sgprSrdC:sgprSrdC+3], 0, offen offset:128,  sc0 sc1 // load C for beta calc
/* (d1,vc1,d0,vc0)=(3,1,3,0) */
_buffer_load_d16_b16 v196, v7, s[sgprSrdC:sgprSrdC+3], 0, offen offset:192,  sc0 sc1 // load C for beta calc
/* (d1,vc1,d0,vc0)=(3,1,4,0) */
_buffer_load_d16_b16 v198, v7, s[sgprSrdC:sgprSrdC+3], 0, offen offset:256,  sc0 sc1 // load C for beta calc
/* (d1,vc1,d0,vc0)=(3,1,5,0) */
_buffer_load_d16_b16 v200, v7, s[sgprSrdC:sgprSrdC+3], 0, offen offset:320,  sc0 sc1 // load C for beta calc
/* (d1,vc1,d0,vc0)=(3,1,6,0) */
_buffer_load_d16_b16 v202, v7, s[sgprSrdC:sgprSrdC+3], 0, offen offset:384,  sc0 sc1 // load C for beta calc
/* (d1,vc1,d0,vc0)=(3,2,0,0) */
s_lshl_b32  s54, s[sgprStrideC1J], 1               // incToNextRow: Scale by BPE
	;; [unrolled: 17-line block ×3, first 2 shown]
s_add_u32  s[sgprSrdC+0], s[sgprSrdC+0], s54       // incToNextRow: gra SRD += inc(lower)
s_addc_u32  s[sgprSrdC+1], s[sgprSrdC+1], 0        // incToNextRow: gra SRD += inc(upper)
_buffer_load_d16_b16 v218, v7, s[sgprSrdC:sgprSrdC+3], 0, offen offset:0,  sc0 sc1 // load C for beta calc
/* (d1,vc1,d0,vc0)=(3,3,1,0) */
_buffer_load_d16_b16 v220, v7, s[sgprSrdC:sgprSrdC+3], 0, offen offset:64,  sc0 sc1 // load C for beta calc
/* (d1,vc1,d0,vc0)=(3,3,2,0) */
	;; [unrolled: 2-line block ×7, first 2 shown]
s_mul_i32 s54, s[sgprStrideC1J], 58                // scale StrideC *= numRows(29) * bpe
s_add_u32  s[sgprSrdC+0], s[sgprSrdC+0], s54       // incToNextRow: gra SRD += inc(lower)
s_addc_u32  s[sgprSrdC+1], s[sgprSrdC+1], 0        // incToNextRow: gra SRD += inc(upper)
_buffer_load_d16_b16 v232, v7, s[sgprSrdC:sgprSrdC+3], 0, offen offset:0,  sc0 sc1 // load C for beta calc
/* (d1,vc1,d0,vc0)=(4,0,1,0) */
_buffer_load_d16_b16 v234, v7, s[sgprSrdC:sgprSrdC+3], 0, offen offset:64,  sc0 sc1 // load C for beta calc
/* (d1,vc1,d0,vc0)=(4,0,2,0) */
	;; [unrolled: 2-line block ×7, first 2 shown]
s_lshl_b32  s54, s[sgprStrideC1J], 1               // incToNextRow: Scale by BPE
s_add_u32  s[sgprSrdC+0], s[sgprSrdC+0], s54       // incToNextRow: gra SRD += inc(lower)
s_addc_u32  s[sgprSrdC+1], s[sgprSrdC+1], 0        // incToNextRow: gra SRD += inc(upper)
_buffer_load_d16_b16 v249, v7, s[sgprSrdC:sgprSrdC+3], 0, offen offset:0,  sc0 sc1 // load C for beta calc
/* (d1,vc1,d0,vc0)=(4,1,1,0) */
_buffer_load_d16_b16 v251, v7, s[sgprSrdC:sgprSrdC+3], 0, offen offset:64,  sc0 sc1 // load C for beta calc
/* (d1,vc1,d0,vc0)=(4,1,2,0) */
_buffer_load_d16_b16 v253, v7, s[sgprSrdC:sgprSrdC+3], 0, offen offset:128,  sc0 sc1 // load C for beta calc
_v_add_lshl_u32 v6, v3, v0, 0x1                    // optSingleColVgpr scaleToBpe: sharedAddrVgpr <- cinRowPtr + coord0, scaled by BPE. BSHERE:coord0=0, coord0Vgpr=0
s_sleep 5 // optimization: sync and wait
s_barrier
v_accvgpr_read_b32 v[vgprValuC+9], acc0 // copy acc to vreg[0]
v_accvgpr_read_b32 v[vgprValuC+11], acc4 // copy acc to vreg[1]
v_accvgpr_read_b32 v[vgprValuC+13], acc8 // copy acc to vreg[2]
v_accvgpr_read_b32 v[vgprValuC+15], acc12 // copy acc to vreg[3]
v_accvgpr_read_b32 v[vgprValuC+17], acc16 // copy acc to vreg[4]
v_accvgpr_read_b32 v[vgprValuC+19], acc20 // copy acc to vreg[5]
v_accvgpr_read_b32 v[vgprValuC+21], acc24 // copy acc to vreg[6]
v_accvgpr_read_b32 v[vgprValuC+23], acc1 // copy acc to vreg[7]
v_accvgpr_read_b32 v[vgprValuC+25], acc5 // copy acc to vreg[8]
v_accvgpr_read_b32 v[vgprValuC+27], acc9 // copy acc to vreg[9]
v_accvgpr_read_b32 v[vgprValuC+29], acc13 // copy acc to vreg[10]
v_accvgpr_read_b32 v[vgprValuC+31], acc17 // copy acc to vreg[11]
v_accvgpr_read_b32 v[vgprValuC+33], acc21 // copy acc to vreg[12]
v_accvgpr_read_b32 v[vgprValuC+35], acc25 // copy acc to vreg[13]
v_accvgpr_read_b32 v[vgprValuC+37], acc2 // copy acc to vreg[14]
v_accvgpr_read_b32 v[vgprValuC+39], acc6 // copy acc to vreg[15]
v_accvgpr_read_b32 v[vgprValuC+41], acc10 // copy acc to vreg[16]
v_accvgpr_read_b32 v[vgprValuC+43], acc14 // copy acc to vreg[17]
v_accvgpr_read_b32 v[vgprValuC+45], acc18 // copy acc to vreg[18]
v_accvgpr_read_b32 v[vgprValuC+47], acc22 // copy acc to vreg[19]
v_accvgpr_read_b32 v[vgprValuC+49], acc26 // copy acc to vreg[20]
v_accvgpr_read_b32 v[vgprValuC+51], acc3 // copy acc to vreg[21]
v_accvgpr_read_b32 v[vgprValuC+53], acc7 // copy acc to vreg[22]
v_accvgpr_read_b32 v[vgprValuC+55], acc11 // copy acc to vreg[23]
v_accvgpr_read_b32 v[vgprValuC+57], acc15 // copy acc to vreg[24]
v_accvgpr_read_b32 v[vgprValuC+59], acc19 // copy acc to vreg[25]
v_accvgpr_read_b32 v[vgprValuC+61], acc23 // copy acc to vreg[26]
v_accvgpr_read_b32 v[vgprValuC+63], acc27 // copy acc to vreg[27]
v_accvgpr_read_b32 v[vgprValuC+65], acc28 // copy acc to vreg[28]
v_accvgpr_read_b32 v[vgprValuC+67], acc32 // copy acc to vreg[29]
v_accvgpr_read_b32 v[vgprValuC+69], acc36 // copy acc to vreg[30]
v_accvgpr_read_b32 v[vgprValuC+71], acc40 // copy acc to vreg[31]
v_accvgpr_read_b32 v[vgprValuC+73], acc44 // copy acc to vreg[32]
v_accvgpr_read_b32 v[vgprValuC+75], acc48 // copy acc to vreg[33]
v_accvgpr_read_b32 v[vgprValuC+77], acc52 // copy acc to vreg[34]
v_accvgpr_read_b32 v[vgprValuC+79], acc29 // copy acc to vreg[35]
v_accvgpr_read_b32 v[vgprValuC+81], acc33 // copy acc to vreg[36]
v_accvgpr_read_b32 v[vgprValuC+83], acc37 // copy acc to vreg[37]
v_accvgpr_read_b32 v[vgprValuC+85], acc41 // copy acc to vreg[38]
v_accvgpr_read_b32 v[vgprValuC+87], acc45 // copy acc to vreg[39]
v_accvgpr_read_b32 v[vgprValuC+89], acc49 // copy acc to vreg[40]
v_accvgpr_read_b32 v[vgprValuC+91], acc53 // copy acc to vreg[41]
v_accvgpr_read_b32 v[vgprValuC+93], acc30 // copy acc to vreg[42]
v_accvgpr_read_b32 v[vgprValuC+95], acc34 // copy acc to vreg[43]
v_accvgpr_read_b32 v[vgprValuC+97], acc38 // copy acc to vreg[44]
v_accvgpr_read_b32 v[vgprValuC+99], acc42 // copy acc to vreg[45]
v_accvgpr_read_b32 v[vgprValuC+101], acc46 // copy acc to vreg[46]
v_accvgpr_read_b32 v[vgprValuC+103], acc50 // copy acc to vreg[47]
v_accvgpr_read_b32 v[vgprValuC+105], acc54 // copy acc to vreg[48]
v_accvgpr_read_b32 v[vgprValuC+107], acc31 // copy acc to vreg[49]
v_accvgpr_read_b32 v[vgprValuC+109], acc35 // copy acc to vreg[50]
v_accvgpr_read_b32 v[vgprValuC+111], acc39 // copy acc to vreg[51]
v_accvgpr_read_b32 v[vgprValuC+113], acc43 // copy acc to vreg[52]
v_accvgpr_read_b32 v[vgprValuC+115], acc47 // copy acc to vreg[53]
v_accvgpr_read_b32 v[vgprValuC+117], acc51 // copy acc to vreg[54]
v_accvgpr_read_b32 v[vgprValuC+119], acc55 // copy acc to vreg[55]
v_accvgpr_read_b32 v[vgprValuC+121], acc56 // copy acc to vreg[56]
v_accvgpr_read_b32 v[vgprValuC+123], acc60 // copy acc to vreg[57]
v_accvgpr_read_b32 v[vgprValuC+125], acc64 // copy acc to vreg[58]
v_accvgpr_read_b32 v[vgprValuC+127], acc68 // copy acc to vreg[59]
v_accvgpr_read_b32 v[vgprValuC+129], acc72 // copy acc to vreg[60]
v_accvgpr_read_b32 v[vgprValuC+131], acc76 // copy acc to vreg[61]
v_accvgpr_read_b32 v[vgprValuC+133], acc80 // copy acc to vreg[62]
v_accvgpr_read_b32 v[vgprValuC+135], acc57 // copy acc to vreg[63]
v_accvgpr_read_b32 v[vgprValuC+137], acc61 // copy acc to vreg[64]
v_accvgpr_read_b32 v[vgprValuC+139], acc65 // copy acc to vreg[65]
v_accvgpr_read_b32 v[vgprValuC+141], acc69 // copy acc to vreg[66]
v_accvgpr_read_b32 v[vgprValuC+143], acc73 // copy acc to vreg[67]
v_accvgpr_read_b32 v[vgprValuC+145], acc77 // copy acc to vreg[68]
v_accvgpr_read_b32 v[vgprValuC+147], acc81 // copy acc to vreg[69]
v_accvgpr_read_b32 v[vgprValuC+149], acc58 // copy acc to vreg[70]
v_accvgpr_read_b32 v[vgprValuC+151], acc62 // copy acc to vreg[71]
v_accvgpr_read_b32 v[vgprValuC+153], acc66 // copy acc to vreg[72]
v_accvgpr_read_b32 v[vgprValuC+155], acc70 // copy acc to vreg[73]
v_accvgpr_read_b32 v[vgprValuC+157], acc74 // copy acc to vreg[74]
v_accvgpr_read_b32 v[vgprValuC+159], acc78 // copy acc to vreg[75]
v_accvgpr_read_b32 v[vgprValuC+161], acc82 // copy acc to vreg[76]
v_accvgpr_read_b32 v[vgprValuC+163], acc59 // copy acc to vreg[77]
v_accvgpr_read_b32 v[vgprValuC+165], acc63 // copy acc to vreg[78]
v_accvgpr_read_b32 v[vgprValuC+167], acc67 // copy acc to vreg[79]
v_accvgpr_read_b32 v[vgprValuC+169], acc71 // copy acc to vreg[80]
v_accvgpr_read_b32 v[vgprValuC+171], acc75 // copy acc to vreg[81]
v_accvgpr_read_b32 v[vgprValuC+173], acc79 // copy acc to vreg[82]
v_accvgpr_read_b32 v[vgprValuC+175], acc83 // copy acc to vreg[83]
v_accvgpr_read_b32 v[vgprValuC+177], acc84 // copy acc to vreg[84]
v_accvgpr_read_b32 v[vgprValuC+179], acc88 // copy acc to vreg[85]
v_accvgpr_read_b32 v[vgprValuC+181], acc92 // copy acc to vreg[86]
v_accvgpr_read_b32 v[vgprValuC+183], acc96 // copy acc to vreg[87]
v_accvgpr_read_b32 v[vgprValuC+185], acc100 // copy acc to vreg[88]
v_accvgpr_read_b32 v[vgprValuC+187], acc104 // copy acc to vreg[89]
v_accvgpr_read_b32 v[vgprValuC+189], acc108 // copy acc to vreg[90]
v_accvgpr_read_b32 v[vgprValuC+191], acc85 // copy acc to vreg[91]
v_accvgpr_read_b32 v[vgprValuC+193], acc89 // copy acc to vreg[92]
v_accvgpr_read_b32 v[vgprValuC+195], acc93 // copy acc to vreg[93]
v_accvgpr_read_b32 v[vgprValuC+197], acc97 // copy acc to vreg[94]
v_accvgpr_read_b32 v[vgprValuC+199], acc101 // copy acc to vreg[95]
v_accvgpr_read_b32 v[vgprValuC+201], acc105 // copy acc to vreg[96]
v_accvgpr_read_b32 v[vgprValuC+203], acc109 // copy acc to vreg[97]
v_accvgpr_read_b32 v[vgprValuC+205], acc86 // copy acc to vreg[98]
v_accvgpr_read_b32 v[vgprValuC+207], acc90 // copy acc to vreg[99]
v_accvgpr_read_b32 v[vgprValuC+209], acc94 // copy acc to vreg[100]
v_accvgpr_read_b32 v[vgprValuC+211], acc98 // copy acc to vreg[101]
v_accvgpr_read_b32 v[vgprValuC+213], acc102 // copy acc to vreg[102]
v_accvgpr_read_b32 v[vgprValuC+215], acc106 // copy acc to vreg[103]
v_accvgpr_read_b32 v[vgprValuC+217], acc110 // copy acc to vreg[104]
v_accvgpr_read_b32 v[vgprValuC+219], acc87 // copy acc to vreg[105]
v_accvgpr_read_b32 v[vgprValuC+221], acc91 // copy acc to vreg[106]
v_accvgpr_read_b32 v[vgprValuC+223], acc95 // copy acc to vreg[107]
v_accvgpr_read_b32 v[vgprValuC+225], acc99 // copy acc to vreg[108]
v_accvgpr_read_b32 v[vgprValuC+227], acc103 // copy acc to vreg[109]
v_accvgpr_read_b32 v[vgprValuC+229], acc107 // copy acc to vreg[110]
v_accvgpr_read_b32 v[vgprValuC+231], acc111 // copy acc to vreg[111]
v_accvgpr_read_b32 v[vgprValuC+233], acc112 // copy acc to vreg[112]
v_accvgpr_read_b32 v[vgprValuC+235], acc116 // copy acc to vreg[113]
v_accvgpr_read_b32 v[vgprValuC+237], acc120 // copy acc to vreg[114]
v_accvgpr_read_b32 v[vgprValuC+239], acc124 // copy acc to vreg[115]
v_accvgpr_read_b32 v[vgprValuC+241], acc128 // copy acc to vreg[116]
v_accvgpr_read_b32 v[vgprValuC+246], acc132 // copy acc to vreg[117]
v_accvgpr_read_b32 v[vgprValuC+248], acc136 // copy acc to vreg[118]
v_accvgpr_read_b32 v[vgprValuC+250], acc113 // copy acc to vreg[119]
v_accvgpr_read_b32 v[vgprValuC+252], acc117 // copy acc to vreg[120]
v_accvgpr_read_b32 v[vgprValuC+254], acc121 // copy acc to vreg[121]
s_nop 1                                            // 2 wait states required before reading vgpr

/* rC *= alpha batchElements=[(0, 0, 0, 0), (0, 1, 0, 0), (0, 2, 0, 0), (0, 3, 0, 0), (0, 4, 0, 0), (0, 5, 0, 0), (0, 6, 0, 0), (0, 0, 1, 0), (0, 1, 1, 0), (0, 2, 1, 0), (0, 3, 1, 0), (0, 4, 1, 0), (0, 5, 1, 0), (0, 6, 1, 0), (0, 0, 2, 0), (0, 1, 2, 0), (0, 2, 2, 0), (0, 3, 2, 0), (0, 4, 2, 0), (0, 5, 2, 0), (0, 6, 2, 0), (0, 0, 3, 0), (0, 1, 3, 0), (0, 2, 3, 0), (0, 3, 3, 0), (0, 4, 3, 0), (0, 5, 3, 0), (0, 6, 3, 0), (1, 0, 0, 0), (1, 1, 0, 0), (1, 2, 0, 0), (1, 3, 0, 0), (1, 4, 0, 0), (1, 5, 0, 0), (1, 6, 0, 0), (1, 0, 1, 0), (1, 1, 1, 0), (1, 2, 1, 0), (1, 3, 1, 0), (1, 4, 1, 0), (1, 5, 1, 0), (1, 6, 1, 0), (1, 0, 2, 0), (1, 1, 2, 0), (1, 2, 2, 0), (1, 3, 2, 0), (1, 4, 2, 0), (1, 5, 2, 0), (1, 6, 2, 0), (1, 0, 3, 0), (1, 1, 3, 0), (1, 2, 3, 0), (1, 3, 3, 0), (1, 4, 3, 0), (1, 5, 3, 0), (1, 6, 3, 0), (2, 0, 0, 0), (2, 1, 0, 0), (2, 2, 0, 0), (2, 3, 0, 0), (2, 4, 0, 0), (2, 5, 0, 0), (2, 6, 0, 0), (2, 0, 1, 0), (2, 1, 1, 0), (2, 2, 1, 0), (2, 3, 1, 0), (2, 4, 1, 0), (2, 5, 1, 0), (2, 6, 1, 0), (2, 0, 2, 0), (2, 1, 2, 0), (2, 2, 2, 0), (2, 3, 2, 0), (2, 4, 2, 0), (2, 5, 2, 0), (2, 6, 2, 0), (2, 0, 3, 0), (2, 1, 3, 0), (2, 2, 3, 0), (2, 3, 3, 0), (2, 4, 3, 0), (2, 5, 3, 0), (2, 6, 3, 0), (3, 0, 0, 0), (3, 1, 0, 0), (3, 2, 0, 0), (3, 3, 0, 0), (3, 4, 0, 0), (3, 5, 0, 0), (3, 6, 0, 0), (3, 0, 1, 0), (3, 1, 1, 0), (3, 2, 1, 0), (3, 3, 1, 0), (3, 4, 1, 0), (3, 5, 1, 0), (3, 6, 1, 0), (3, 0, 2, 0), (3, 1, 2, 0), (3, 2, 2, 0), (3, 3, 2, 0), (3, 4, 2, 0), (3, 5, 2, 0), (3, 6, 2, 0), (3, 0, 3, 0), (3, 1, 3, 0), (3, 2, 3, 0), (3, 3, 3, 0), (3, 4, 3, 0), (3, 5, 3, 0), (3, 6, 3, 0), (4, 0, 0, 0), (4, 1, 0, 0), (4, 2, 0, 0), (4, 3, 0, 0), (4, 4, 0, 0), (4, 5, 0, 0), (4, 6, 0, 0), (4, 0, 1, 0), (4, 1, 1, 0), (4, 2, 1, 0)] */
v_mul_f32 v[vgprValuC+9], s[sgprAlpha], v[vgprValuC+9] // *= alpha
v_mul_f32 v[vgprValuC+11], s[sgprAlpha], v[vgprValuC+11] // *= alpha
	;; [unrolled: 1-line block ×122, first 2 shown]

/* apply mask, calc new C and issue writes */

s_waitcnt vmcnt(63)                                // wait C (interleaved) 121 = 122 - 0 + 0 - 1
v_fma_mix_f32 v[vgprValuC+9], s[sgprBeta], v8, v[vgprValuC+9], op_sel:[0,0,0] op_sel_hi:[0,1,0] // //C*=beta
v_cvt_f16_f32 v[vgprValuC+9], v[vgprValuC+9]       // convert C to fp16
_buffer_store_b16 v9, v6, s[sgprSrdD:sgprSrdD+3], 0, offen, offset:0,  sc0 sc1 // store D

s_waitcnt vmcnt(63)                                // wait C (interleaved) 121 = 122 - 1 + 1 - 1
v_fma_mix_f32 v[vgprValuC+11], s[sgprBeta], v10, v[vgprValuC+11], op_sel:[0,0,0] op_sel_hi:[0,1,0] // //C*=beta
v_cvt_f16_f32 v[vgprValuC+11], v[vgprValuC+11]     // convert C to fp16
_buffer_store_b16 v11, v6, s[sgprSrdD:sgprSrdD+3], 0, offen, offset:64,  sc0 sc1 // store D

s_waitcnt vmcnt(63)                                // wait C (interleaved) 121 = 122 - 2 + 2 - 1
v_fma_mix_f32 v[vgprValuC+13], s[sgprBeta], v12, v[vgprValuC+13], op_sel:[0,0,0] op_sel_hi:[0,1,0] // //C*=beta
v_cvt_f16_f32 v[vgprValuC+13], v[vgprValuC+13]     // convert C to fp16
_buffer_store_b16 v13, v6, s[sgprSrdD:sgprSrdD+3], 0, offen, offset:128,  sc0 sc1 // store D

s_waitcnt vmcnt(63)                                // wait C (interleaved) 121 = 122 - 3 + 3 - 1
v_fma_mix_f32 v[vgprValuC+15], s[sgprBeta], v14, v[vgprValuC+15], op_sel:[0,0,0] op_sel_hi:[0,1,0] // //C*=beta
v_cvt_f16_f32 v[vgprValuC+15], v[vgprValuC+15]     // convert C to fp16
_buffer_store_b16 v15, v6, s[sgprSrdD:sgprSrdD+3], 0, offen, offset:192,  sc0 sc1 // store D

s_waitcnt vmcnt(63)                                // wait C (interleaved) 121 = 122 - 4 + 4 - 1
v_fma_mix_f32 v[vgprValuC+17], s[sgprBeta], v16, v[vgprValuC+17], op_sel:[0,0,0] op_sel_hi:[0,1,0] // //C*=beta
v_cvt_f16_f32 v[vgprValuC+17], v[vgprValuC+17]     // convert C to fp16
_buffer_store_b16 v17, v6, s[sgprSrdD:sgprSrdD+3], 0, offen, offset:256,  sc0 sc1 // store D

s_waitcnt vmcnt(63)                                // wait C (interleaved) 121 = 122 - 5 + 5 - 1
v_fma_mix_f32 v[vgprValuC+19], s[sgprBeta], v18, v[vgprValuC+19], op_sel:[0,0,0] op_sel_hi:[0,1,0] // //C*=beta
v_cvt_f16_f32 v[vgprValuC+19], v[vgprValuC+19]     // convert C to fp16
_buffer_store_b16 v19, v6, s[sgprSrdD:sgprSrdD+3], 0, offen, offset:320,  sc0 sc1 // store D

s_waitcnt vmcnt(63)                                // wait C (interleaved) 121 = 122 - 6 + 6 - 1
v_fma_mix_f32 v[vgprValuC+21], s[sgprBeta], v20, v[vgprValuC+21], op_sel:[0,0,0] op_sel_hi:[0,1,0] // //C*=beta
v_cvt_f16_f32 v[vgprValuC+21], v[vgprValuC+21]     // convert C to fp16
_buffer_store_b16 v21, v6, s[sgprSrdD:sgprSrdD+3], 0, offen, offset:384,  sc0 sc1 // store D

s_waitcnt vmcnt(63)                                // wait C (interleaved) 121 = 122 - 7 + 7 - 1
v_fma_mix_f32 v[vgprValuC+23], s[sgprBeta], v22, v[vgprValuC+23], op_sel:[0,0,0] op_sel_hi:[0,1,0] // //C*=beta
v_cvt_f16_f32 v[vgprValuC+23], v[vgprValuC+23]     // convert C to fp16
s_lshl_b32  s54, s[sgprStrideD1J], 1               // incToNextRow: Scale by BPE
s_add_u32  s[sgprSrdD+0], s[sgprSrdD+0], s54       // incToNextRow: gra SRD += inc(lower)
s_addc_u32  s[sgprSrdD+1], s[sgprSrdD+1], 0        // incToNextRow: gra SRD += inc(upper)
_buffer_store_b16 v23, v6, s[sgprSrdD:sgprSrdD+3], 0, offen, offset:0,  sc0 sc1 // store D

s_waitcnt vmcnt(63)                                // wait C (interleaved) 121 = 122 - 8 + 8 - 1
v_fma_mix_f32 v[vgprValuC+25], s[sgprBeta], v24, v[vgprValuC+25], op_sel:[0,0,0] op_sel_hi:[0,1,0] // //C*=beta
v_cvt_f16_f32 v[vgprValuC+25], v[vgprValuC+25]     // convert C to fp16
_buffer_store_b16 v25, v6, s[sgprSrdD:sgprSrdD+3], 0, offen, offset:64,  sc0 sc1 // store D

s_waitcnt vmcnt(63)                                // wait C (interleaved) 121 = 122 - 9 + 9 - 1
v_fma_mix_f32 v[vgprValuC+27], s[sgprBeta], v26, v[vgprValuC+27], op_sel:[0,0,0] op_sel_hi:[0,1,0] // //C*=beta
v_cvt_f16_f32 v[vgprValuC+27], v[vgprValuC+27]     // convert C to fp16
_buffer_store_b16 v27, v6, s[sgprSrdD:sgprSrdD+3], 0, offen, offset:128,  sc0 sc1 // store D

s_waitcnt vmcnt(63)                                // wait C (interleaved) 121 = 122 - 10 + 10 - 1
v_fma_mix_f32 v[vgprValuC+29], s[sgprBeta], v28, v[vgprValuC+29], op_sel:[0,0,0] op_sel_hi:[0,1,0] // //C*=beta
v_cvt_f16_f32 v[vgprValuC+29], v[vgprValuC+29]     // convert C to fp16
_buffer_store_b16 v29, v6, s[sgprSrdD:sgprSrdD+3], 0, offen, offset:192,  sc0 sc1 // store D

s_waitcnt vmcnt(63)                                // wait C (interleaved) 121 = 122 - 11 + 11 - 1
v_fma_mix_f32 v[vgprValuC+31], s[sgprBeta], v30, v[vgprValuC+31], op_sel:[0,0,0] op_sel_hi:[0,1,0] // //C*=beta
v_cvt_f16_f32 v[vgprValuC+31], v[vgprValuC+31]     // convert C to fp16
_buffer_store_b16 v31, v6, s[sgprSrdD:sgprSrdD+3], 0, offen, offset:256,  sc0 sc1 // store D

s_waitcnt vmcnt(63)                                // wait C (interleaved) 121 = 122 - 12 + 12 - 1
v_fma_mix_f32 v[vgprValuC+33], s[sgprBeta], v32, v[vgprValuC+33], op_sel:[0,0,0] op_sel_hi:[0,1,0] // //C*=beta
v_cvt_f16_f32 v[vgprValuC+33], v[vgprValuC+33]     // convert C to fp16
_buffer_store_b16 v33, v6, s[sgprSrdD:sgprSrdD+3], 0, offen, offset:320,  sc0 sc1 // store D

s_waitcnt vmcnt(63)                                // wait C (interleaved) 121 = 122 - 13 + 13 - 1
v_fma_mix_f32 v[vgprValuC+35], s[sgprBeta], v34, v[vgprValuC+35], op_sel:[0,0,0] op_sel_hi:[0,1,0] // //C*=beta
v_cvt_f16_f32 v[vgprValuC+35], v[vgprValuC+35]     // convert C to fp16
_buffer_store_b16 v35, v6, s[sgprSrdD:sgprSrdD+3], 0, offen, offset:384,  sc0 sc1 // store D

s_waitcnt vmcnt(63)                                // wait C (interleaved) 121 = 122 - 14 + 14 - 1
v_fma_mix_f32 v[vgprValuC+37], s[sgprBeta], v36, v[vgprValuC+37], op_sel:[0,0,0] op_sel_hi:[0,1,0] // //C*=beta
v_cvt_f16_f32 v[vgprValuC+37], v[vgprValuC+37]     // convert C to fp16
s_lshl_b32  s54, s[sgprStrideD1J], 1               // incToNextRow: Scale by BPE
s_add_u32  s[sgprSrdD+0], s[sgprSrdD+0], s54       // incToNextRow: gra SRD += inc(lower)
s_addc_u32  s[sgprSrdD+1], s[sgprSrdD+1], 0        // incToNextRow: gra SRD += inc(upper)
	;; [unrolled: 38-line block ×3, first 2 shown]
_buffer_store_b16 v51, v6, s[sgprSrdD:sgprSrdD+3], 0, offen, offset:0,  sc0 sc1 // store D

s_waitcnt vmcnt(63)                                // wait C (interleaved) 121 = 122 - 22 + 22 - 1
v_fma_mix_f32 v[vgprValuC+53], s[sgprBeta], v52, v[vgprValuC+53], op_sel:[0,0,0] op_sel_hi:[0,1,0] // //C*=beta
v_cvt_f16_f32 v[vgprValuC+53], v[vgprValuC+53]     // convert C to fp16
_buffer_store_b16 v53, v6, s[sgprSrdD:sgprSrdD+3], 0, offen, offset:64,  sc0 sc1 // store D

s_waitcnt vmcnt(63)                                // wait C (interleaved) 121 = 122 - 23 + 23 - 1
v_fma_mix_f32 v[vgprValuC+55], s[sgprBeta], v54, v[vgprValuC+55], op_sel:[0,0,0] op_sel_hi:[0,1,0] // //C*=beta
v_cvt_f16_f32 v[vgprValuC+55], v[vgprValuC+55]     // convert C to fp16
	;; [unrolled: 5-line block ×7, first 2 shown]
s_mul_i32 s54, s[sgprStrideD1J], 58                // scale StrideD *= numRows(29) * bpe
s_add_u32  s[sgprSrdD+0], s[sgprSrdD+0], s54       // incToNextRow: gra SRD += inc(lower)
s_addc_u32  s[sgprSrdD+1], s[sgprSrdD+1], 0        // incToNextRow: gra SRD += inc(upper)
_buffer_store_b16 v65, v6, s[sgprSrdD:sgprSrdD+3], 0, offen, offset:0,  sc0 sc1 // store D

s_waitcnt vmcnt(63)                                // wait C (interleaved) 121 = 122 - 29 + 29 - 1
v_fma_mix_f32 v[vgprValuC+67], s[sgprBeta], v66, v[vgprValuC+67], op_sel:[0,0,0] op_sel_hi:[0,1,0] // //C*=beta
v_cvt_f16_f32 v[vgprValuC+67], v[vgprValuC+67]     // convert C to fp16
_buffer_store_b16 v67, v6, s[sgprSrdD:sgprSrdD+3], 0, offen, offset:64,  sc0 sc1 // store D

s_waitcnt vmcnt(63)                                // wait C (interleaved) 121 = 122 - 30 + 30 - 1
v_fma_mix_f32 v[vgprValuC+69], s[sgprBeta], v68, v[vgprValuC+69], op_sel:[0,0,0] op_sel_hi:[0,1,0] // //C*=beta
v_cvt_f16_f32 v[vgprValuC+69], v[vgprValuC+69]     // convert C to fp16
	;; [unrolled: 5-line block ×7, first 2 shown]
s_lshl_b32  s54, s[sgprStrideD1J], 1               // incToNextRow: Scale by BPE
s_add_u32  s[sgprSrdD+0], s[sgprSrdD+0], s54       // incToNextRow: gra SRD += inc(lower)
s_addc_u32  s[sgprSrdD+1], s[sgprSrdD+1], 0        // incToNextRow: gra SRD += inc(upper)
_buffer_store_b16 v79, v6, s[sgprSrdD:sgprSrdD+3], 0, offen, offset:0,  sc0 sc1 // store D

s_waitcnt vmcnt(63)                                // wait C (interleaved) 121 = 122 - 36 + 36 - 1
v_fma_mix_f32 v[vgprValuC+81], s[sgprBeta], v80, v[vgprValuC+81], op_sel:[0,0,0] op_sel_hi:[0,1,0] // //C*=beta
v_cvt_f16_f32 v[vgprValuC+81], v[vgprValuC+81]     // convert C to fp16
_buffer_store_b16 v81, v6, s[sgprSrdD:sgprSrdD+3], 0, offen, offset:64,  sc0 sc1 // store D

s_waitcnt vmcnt(63)                                // wait C (interleaved) 121 = 122 - 37 + 37 - 1
v_fma_mix_f32 v[vgprValuC+83], s[sgprBeta], v82, v[vgprValuC+83], op_sel:[0,0,0] op_sel_hi:[0,1,0] // //C*=beta
v_cvt_f16_f32 v[vgprValuC+83], v[vgprValuC+83]     // convert C to fp16
	;; [unrolled: 5-line block ×7, first 2 shown]
s_lshl_b32  s54, s[sgprStrideD1J], 1               // incToNextRow: Scale by BPE
s_add_u32  s[sgprSrdD+0], s[sgprSrdD+0], s54       // incToNextRow: gra SRD += inc(lower)
s_addc_u32  s[sgprSrdD+1], s[sgprSrdD+1], 0        // incToNextRow: gra SRD += inc(upper)
_buffer_store_b16 v93, v6, s[sgprSrdD:sgprSrdD+3], 0, offen, offset:0,  sc0 sc1 // store D

s_waitcnt vmcnt(63)                                // wait C (interleaved) 121 = 122 - 43 + 43 - 1
v_fma_mix_f32 v[vgprValuC+95], s[sgprBeta], v94, v[vgprValuC+95], op_sel:[0,0,0] op_sel_hi:[0,1,0] // //C*=beta
v_cvt_f16_f32 v[vgprValuC+95], v[vgprValuC+95]     // convert C to fp16
_buffer_store_b16 v95, v6, s[sgprSrdD:sgprSrdD+3], 0, offen, offset:64,  sc0 sc1 // store D

s_waitcnt vmcnt(63)                                // wait C (interleaved) 121 = 122 - 44 + 44 - 1
v_fma_mix_f32 v[vgprValuC+97], s[sgprBeta], v96, v[vgprValuC+97], op_sel:[0,0,0] op_sel_hi:[0,1,0] // //C*=beta
v_cvt_f16_f32 v[vgprValuC+97], v[vgprValuC+97]     // convert C to fp16
	;; [unrolled: 5-line block ×3, first 2 shown]
_buffer_store_b16 v99, v6, s[sgprSrdD:sgprSrdD+3], 0, offen, offset:192,  sc0 sc1 // store D

s_waitcnt vmcnt(63)                                // wait C (interleaved) 121 = 122 - 46 + 46 - 1
v_fma_mix_f32 v[vgprValuC+101], s[sgprBeta], v100, v[vgprValuC+101], op_sel:[0,0,0] op_sel_hi:[0,1,0] // //C*=beta
v_cvt_f16_f32 v[vgprValuC+101], v[vgprValuC+101]   // convert C to fp16
_buffer_store_b16 v101, v6, s[sgprSrdD:sgprSrdD+3], 0, offen, offset:256,  sc0 sc1 // store D

s_waitcnt vmcnt(63)                                // wait C (interleaved) 121 = 122 - 47 + 47 - 1
v_fma_mix_f32 v[vgprValuC+103], s[sgprBeta], v102, v[vgprValuC+103], op_sel:[0,0,0] op_sel_hi:[0,1,0] // //C*=beta
v_cvt_f16_f32 v[vgprValuC+103], v[vgprValuC+103]   // convert C to fp16
	;; [unrolled: 5-line block ×4, first 2 shown]
s_lshl_b32  s54, s[sgprStrideD1J], 1               // incToNextRow: Scale by BPE
s_add_u32  s[sgprSrdD+0], s[sgprSrdD+0], s54       // incToNextRow: gra SRD += inc(lower)
s_addc_u32  s[sgprSrdD+1], s[sgprSrdD+1], 0        // incToNextRow: gra SRD += inc(upper)
_buffer_store_b16 v107, v6, s[sgprSrdD:sgprSrdD+3], 0, offen, offset:0,  sc0 sc1 // store D

s_waitcnt vmcnt(63)                                // wait C (interleaved) 121 = 122 - 50 + 50 - 1
v_fma_mix_f32 v[vgprValuC+109], s[sgprBeta], v108, v[vgprValuC+109], op_sel:[0,0,0] op_sel_hi:[0,1,0] // //C*=beta
v_cvt_f16_f32 v[vgprValuC+109], v[vgprValuC+109]   // convert C to fp16
_buffer_store_b16 v109, v6, s[sgprSrdD:sgprSrdD+3], 0, offen, offset:64,  sc0 sc1 // store D

s_waitcnt vmcnt(63)                                // wait C (interleaved) 121 = 122 - 51 + 51 - 1
v_fma_mix_f32 v[vgprValuC+111], s[sgprBeta], v110, v[vgprValuC+111], op_sel:[0,0,0] op_sel_hi:[0,1,0] // //C*=beta
v_cvt_f16_f32 v[vgprValuC+111], v[vgprValuC+111]   // convert C to fp16
_buffer_store_b16 v111, v6, s[sgprSrdD:sgprSrdD+3], 0, offen, offset:128,  sc0 sc1 // store D

s_waitcnt vmcnt(63)                                // wait C (interleaved) 121 = 122 - 52 + 52 - 1
v_fma_mix_f32 v[vgprValuC+113], s[sgprBeta], v112, v[vgprValuC+113], op_sel:[0,0,0] op_sel_hi:[0,1,0] // //C*=beta
v_cvt_f16_f32 v[vgprValuC+113], v[vgprValuC+113]   // convert C to fp16
_buffer_store_b16 v113, v6, s[sgprSrdD:sgprSrdD+3], 0, offen, offset:192,  sc0 sc1 // store D

s_waitcnt vmcnt(63)                                // wait C (interleaved) 121 = 122 - 53 + 53 - 1
v_fma_mix_f32 v[vgprValuC+115], s[sgprBeta], v114, v[vgprValuC+115], op_sel:[0,0,0] op_sel_hi:[0,1,0] // //C*=beta
v_cvt_f16_f32 v[vgprValuC+115], v[vgprValuC+115]   // convert C to fp16
_buffer_store_b16 v115, v6, s[sgprSrdD:sgprSrdD+3], 0, offen, offset:256,  sc0 sc1 // store D

s_waitcnt vmcnt(63)                                // wait C (interleaved) 121 = 122 - 54 + 54 - 1
v_fma_mix_f32 v[vgprValuC+117], s[sgprBeta], v116, v[vgprValuC+117], op_sel:[0,0,0] op_sel_hi:[0,1,0] // //C*=beta
v_cvt_f16_f32 v[vgprValuC+117], v[vgprValuC+117]   // convert C to fp16
_buffer_store_b16 v117, v6, s[sgprSrdD:sgprSrdD+3], 0, offen, offset:320,  sc0 sc1 // store D

s_waitcnt vmcnt(63)                                // wait C (interleaved) 121 = 122 - 55 + 55 - 1
v_fma_mix_f32 v[vgprValuC+119], s[sgprBeta], v118, v[vgprValuC+119], op_sel:[0,0,0] op_sel_hi:[0,1,0] // //C*=beta
v_cvt_f16_f32 v[vgprValuC+119], v[vgprValuC+119]   // convert C to fp16
_buffer_store_b16 v119, v6, s[sgprSrdD:sgprSrdD+3], 0, offen, offset:384,  sc0 sc1 // store D

s_waitcnt vmcnt(63)                                // wait C (interleaved) 121 = 122 - 56 + 56 - 1
v_fma_mix_f32 v[vgprValuC+121], s[sgprBeta], v120, v[vgprValuC+121], op_sel:[0,0,0] op_sel_hi:[0,1,0] // //C*=beta
v_cvt_f16_f32 v[vgprValuC+121], v[vgprValuC+121]   // convert C to fp16
s_mul_i32 s54, s[sgprStrideD1J], 58                // scale StrideD *= numRows(29) * bpe
s_add_u32  s[sgprSrdD+0], s[sgprSrdD+0], s54       // incToNextRow: gra SRD += inc(lower)
s_addc_u32  s[sgprSrdD+1], s[sgprSrdD+1], 0        // incToNextRow: gra SRD += inc(upper)
_buffer_store_b16 v121, v6, s[sgprSrdD:sgprSrdD+3], 0, offen, offset:0,  sc0 sc1 // store D

s_waitcnt vmcnt(63)                                // wait C (interleaved) 121 = 122 - 57 + 57 - 1
v_fma_mix_f32 v[vgprValuC+123], s[sgprBeta], v122, v[vgprValuC+123], op_sel:[0,0,0] op_sel_hi:[0,1,0] // //C*=beta
v_cvt_f16_f32 v[vgprValuC+123], v[vgprValuC+123]   // convert C to fp16
_buffer_store_b16 v123, v6, s[sgprSrdD:sgprSrdD+3], 0, offen, offset:64,  sc0 sc1 // store D

s_waitcnt vmcnt(63)                                // wait C (interleaved) 121 = 122 - 58 + 58 - 1
v_fma_mix_f32 v[vgprValuC+125], s[sgprBeta], v124, v[vgprValuC+125], op_sel:[0,0,0] op_sel_hi:[0,1,0] // //C*=beta
v_cvt_f16_f32 v[vgprValuC+125], v[vgprValuC+125]   // convert C to fp16
_buffer_store_b16 v125, v6, s[sgprSrdD:sgprSrdD+3], 0, offen, offset:128,  sc0 sc1 // store D

s_waitcnt vmcnt(63)                                // wait C (interleaved) 121 = 122 - 59 + 59 - 1
v_fma_mix_f32 v[vgprValuC+127], s[sgprBeta], v126, v[vgprValuC+127], op_sel:[0,0,0] op_sel_hi:[0,1,0] // //C*=beta
v_cvt_f16_f32 v[vgprValuC+127], v[vgprValuC+127]   // convert C to fp16
_buffer_store_b16 v127, v6, s[sgprSrdD:sgprSrdD+3], 0, offen, offset:192,  sc0 sc1 // store D

s_waitcnt vmcnt(63)                                // wait C (interleaved) 121 = 122 - 60 + 60 - 1
v_fma_mix_f32 v[vgprValuC+129], s[sgprBeta], v128, v[vgprValuC+129], op_sel:[0,0,0] op_sel_hi:[0,1,0] // //C*=beta
v_cvt_f16_f32 v[vgprValuC+129], v[vgprValuC+129]   // convert C to fp16
_buffer_store_b16 v129, v6, s[sgprSrdD:sgprSrdD+3], 0, offen, offset:256,  sc0 sc1 // store D

s_waitcnt vmcnt(63)                                // wait C (interleaved) 121 = 122 - 61 + 61 - 1
v_fma_mix_f32 v[vgprValuC+131], s[sgprBeta], v130, v[vgprValuC+131], op_sel:[0,0,0] op_sel_hi:[0,1,0] // //C*=beta
v_cvt_f16_f32 v[vgprValuC+131], v[vgprValuC+131]   // convert C to fp16
_buffer_store_b16 v131, v6, s[sgprSrdD:sgprSrdD+3], 0, offen, offset:320,  sc0 sc1 // store D

s_waitcnt vmcnt(63)                                // wait C (interleaved) 121 = 122 - 62 + 62 - 1
v_fma_mix_f32 v[vgprValuC+133], s[sgprBeta], v132, v[vgprValuC+133], op_sel:[0,0,0] op_sel_hi:[0,1,0] // //C*=beta
v_cvt_f16_f32 v[vgprValuC+133], v[vgprValuC+133]   // convert C to fp16
_buffer_store_b16 v133, v6, s[sgprSrdD:sgprSrdD+3], 0, offen, offset:384,  sc0 sc1 // store D

s_waitcnt vmcnt(63)                                // wait C (interleaved) 121 = 122 - 63 + 63 - 1
v_fma_mix_f32 v[vgprValuC+135], s[sgprBeta], v134, v[vgprValuC+135], op_sel:[0,0,0] op_sel_hi:[0,1,0] // //C*=beta
v_cvt_f16_f32 v[vgprValuC+135], v[vgprValuC+135]   // convert C to fp16
s_lshl_b32  s54, s[sgprStrideD1J], 1               // incToNextRow: Scale by BPE
s_add_u32  s[sgprSrdD+0], s[sgprSrdD+0], s54       // incToNextRow: gra SRD += inc(lower)
s_addc_u32  s[sgprSrdD+1], s[sgprSrdD+1], 0        // incToNextRow: gra SRD += inc(upper)
_buffer_store_b16 v135, v6, s[sgprSrdD:sgprSrdD+3], 0, offen, offset:0,  sc0 sc1 // store D

s_waitcnt vmcnt(63)                                // wait C (interleaved) 121 = 122 - 64 + 64 - 1
v_fma_mix_f32 v[vgprValuC+137], s[sgprBeta], v136, v[vgprValuC+137], op_sel:[0,0,0] op_sel_hi:[0,1,0] // //C*=beta
v_cvt_f16_f32 v[vgprValuC+137], v[vgprValuC+137]   // convert C to fp16
_buffer_store_b16 v137, v6, s[sgprSrdD:sgprSrdD+3], 0, offen, offset:64,  sc0 sc1 // store D

s_waitcnt vmcnt(63)                                // wait C (interleaved) 121 = 122 - 65 + 65 - 1
v_fma_mix_f32 v[vgprValuC+139], s[sgprBeta], v138, v[vgprValuC+139], op_sel:[0,0,0] op_sel_hi:[0,1,0] // //C*=beta
v_cvt_f16_f32 v[vgprValuC+139], v[vgprValuC+139]   // convert C to fp16
_buffer_store_b16 v139, v6, s[sgprSrdD:sgprSrdD+3], 0, offen, offset:128,  sc0 sc1 // store D

s_waitcnt vmcnt(63)                                // wait C (interleaved) 121 = 122 - 66 + 66 - 1
v_fma_mix_f32 v[vgprValuC+141], s[sgprBeta], v140, v[vgprValuC+141], op_sel:[0,0,0] op_sel_hi:[0,1,0] // //C*=beta
v_cvt_f16_f32 v[vgprValuC+141], v[vgprValuC+141]   // convert C to fp16
_buffer_store_b16 v141, v6, s[sgprSrdD:sgprSrdD+3], 0, offen, offset:192,  sc0 sc1 // store D

s_waitcnt vmcnt(63)                                // wait C (interleaved) 121 = 122 - 67 + 67 - 1
v_fma_mix_f32 v[vgprValuC+143], s[sgprBeta], v142, v[vgprValuC+143], op_sel:[0,0,0] op_sel_hi:[0,1,0] // //C*=beta
v_cvt_f16_f32 v[vgprValuC+143], v[vgprValuC+143]   // convert C to fp16
_buffer_store_b16 v143, v6, s[sgprSrdD:sgprSrdD+3], 0, offen, offset:256,  sc0 sc1 // store D

s_waitcnt vmcnt(63)                                // wait C (interleaved) 121 = 122 - 68 + 68 - 1
v_fma_mix_f32 v[vgprValuC+145], s[sgprBeta], v144, v[vgprValuC+145], op_sel:[0,0,0] op_sel_hi:[0,1,0] // //C*=beta
v_cvt_f16_f32 v[vgprValuC+145], v[vgprValuC+145]   // convert C to fp16
_buffer_store_b16 v145, v6, s[sgprSrdD:sgprSrdD+3], 0, offen, offset:320,  sc0 sc1 // store D

s_waitcnt vmcnt(63)                                // wait C (interleaved) 121 = 122 - 69 + 69 - 1
v_fma_mix_f32 v[vgprValuC+147], s[sgprBeta], v146, v[vgprValuC+147], op_sel:[0,0,0] op_sel_hi:[0,1,0] // //C*=beta
v_cvt_f16_f32 v[vgprValuC+147], v[vgprValuC+147]   // convert C to fp16
_buffer_store_b16 v147, v6, s[sgprSrdD:sgprSrdD+3], 0, offen, offset:384,  sc0 sc1 // store D

s_waitcnt vmcnt(63)                                // wait C (interleaved) 121 = 122 - 70 + 70 - 1
v_fma_mix_f32 v[vgprValuC+149], s[sgprBeta], v148, v[vgprValuC+149], op_sel:[0,0,0] op_sel_hi:[0,1,0] // //C*=beta
v_cvt_f16_f32 v[vgprValuC+149], v[vgprValuC+149]   // convert C to fp16
s_lshl_b32  s54, s[sgprStrideD1J], 1               // incToNextRow: Scale by BPE
	;; [unrolled: 38-line block ×3, first 2 shown]
s_add_u32  s[sgprSrdD+0], s[sgprSrdD+0], s54       // incToNextRow: gra SRD += inc(lower)
s_addc_u32  s[sgprSrdD+1], s[sgprSrdD+1], 0        // incToNextRow: gra SRD += inc(upper)
_buffer_store_b16 v163, v6, s[sgprSrdD:sgprSrdD+3], 0, offen, offset:0,  sc0 sc1 // store D

s_waitcnt vmcnt(63)                                // wait C (interleaved) 121 = 122 - 78 + 78 - 1
v_fma_mix_f32 v[vgprValuC+165], s[sgprBeta], v164, v[vgprValuC+165], op_sel:[0,0,0] op_sel_hi:[0,1,0] // //C*=beta
v_cvt_f16_f32 v[vgprValuC+165], v[vgprValuC+165]   // convert C to fp16
_buffer_store_b16 v165, v6, s[sgprSrdD:sgprSrdD+3], 0, offen, offset:64,  sc0 sc1 // store D

s_waitcnt vmcnt(63)                                // wait C (interleaved) 121 = 122 - 79 + 79 - 1
v_fma_mix_f32 v[vgprValuC+167], s[sgprBeta], v166, v[vgprValuC+167], op_sel:[0,0,0] op_sel_hi:[0,1,0] // //C*=beta
v_cvt_f16_f32 v[vgprValuC+167], v[vgprValuC+167]   // convert C to fp16
	;; [unrolled: 5-line block ×7, first 2 shown]
s_mul_i32 s54, s[sgprStrideD1J], 58                // scale StrideD *= numRows(29) * bpe
s_add_u32  s[sgprSrdD+0], s[sgprSrdD+0], s54       // incToNextRow: gra SRD += inc(lower)
s_addc_u32  s[sgprSrdD+1], s[sgprSrdD+1], 0        // incToNextRow: gra SRD += inc(upper)
_buffer_store_b16 v177, v6, s[sgprSrdD:sgprSrdD+3], 0, offen, offset:0,  sc0 sc1 // store D

s_waitcnt vmcnt(63)                                // wait C (interleaved) 121 = 122 - 85 + 85 - 1
v_fma_mix_f32 v[vgprValuC+179], s[sgprBeta], v178, v[vgprValuC+179], op_sel:[0,0,0] op_sel_hi:[0,1,0] // //C*=beta
v_cvt_f16_f32 v[vgprValuC+179], v[vgprValuC+179]   // convert C to fp16
_buffer_store_b16 v179, v6, s[sgprSrdD:sgprSrdD+3], 0, offen, offset:64,  sc0 sc1 // store D

s_waitcnt vmcnt(63)                                // wait C (interleaved) 121 = 122 - 86 + 86 - 1
v_fma_mix_f32 v[vgprValuC+181], s[sgprBeta], v180, v[vgprValuC+181], op_sel:[0,0,0] op_sel_hi:[0,1,0] // //C*=beta
v_cvt_f16_f32 v[vgprValuC+181], v[vgprValuC+181]   // convert C to fp16
_buffer_store_b16 v181, v6, s[sgprSrdD:sgprSrdD+3], 0, offen, offset:128,  sc0 sc1 // store D

s_waitcnt vmcnt(63)                                // wait C (interleaved) 121 = 122 - 87 + 87 - 1
v_fma_mix_f32 v[vgprValuC+183], s[sgprBeta], v182, v[vgprValuC+183], op_sel:[0,0,0] op_sel_hi:[0,1,0] // //C*=beta
v_cvt_f16_f32 v[vgprValuC+183], v[vgprValuC+183]   // convert C to fp16
_buffer_store_b16 v183, v6, s[sgprSrdD:sgprSrdD+3], 0, offen, offset:192,  sc0 sc1 // store D

s_waitcnt vmcnt(63)                                // wait C (interleaved) 121 = 122 - 88 + 88 - 1
v_fma_mix_f32 v[vgprValuC+185], s[sgprBeta], v184, v[vgprValuC+185], op_sel:[0,0,0] op_sel_hi:[0,1,0] // //C*=beta
v_cvt_f16_f32 v[vgprValuC+185], v[vgprValuC+185]   // convert C to fp16
_buffer_store_b16 v185, v6, s[sgprSrdD:sgprSrdD+3], 0, offen, offset:256,  sc0 sc1 // store D

s_waitcnt vmcnt(63)                                // wait C (interleaved) 121 = 122 - 89 + 89 - 1
v_fma_mix_f32 v[vgprValuC+187], s[sgprBeta], v186, v[vgprValuC+187], op_sel:[0,0,0] op_sel_hi:[0,1,0] // //C*=beta
v_cvt_f16_f32 v[vgprValuC+187], v[vgprValuC+187]   // convert C to fp16
_buffer_store_b16 v187, v6, s[sgprSrdD:sgprSrdD+3], 0, offen, offset:320,  sc0 sc1 // store D

s_waitcnt vmcnt(63)                                // wait C (interleaved) 121 = 122 - 90 + 90 - 1
v_fma_mix_f32 v[vgprValuC+189], s[sgprBeta], v188, v[vgprValuC+189], op_sel:[0,0,0] op_sel_hi:[0,1,0] // //C*=beta
v_cvt_f16_f32 v[vgprValuC+189], v[vgprValuC+189]   // convert C to fp16
_buffer_store_b16 v189, v6, s[sgprSrdD:sgprSrdD+3], 0, offen, offset:384,  sc0 sc1 // store D

s_waitcnt vmcnt(63)                                // wait C (interleaved) 121 = 122 - 91 + 91 - 1
v_fma_mix_f32 v[vgprValuC+191], s[sgprBeta], v190, v[vgprValuC+191], op_sel:[0,0,0] op_sel_hi:[0,1,0] // //C*=beta
v_cvt_f16_f32 v[vgprValuC+191], v[vgprValuC+191]   // convert C to fp16
s_lshl_b32  s54, s[sgprStrideD1J], 1               // incToNextRow: Scale by BPE
s_add_u32  s[sgprSrdD+0], s[sgprSrdD+0], s54       // incToNextRow: gra SRD += inc(lower)
s_addc_u32  s[sgprSrdD+1], s[sgprSrdD+1], 0        // incToNextRow: gra SRD += inc(upper)
_buffer_store_b16 v191, v6, s[sgprSrdD:sgprSrdD+3], 0, offen, offset:0,  sc0 sc1 // store D

s_waitcnt vmcnt(63)                                // wait C (interleaved) 121 = 122 - 92 + 92 - 1
v_fma_mix_f32 v[vgprValuC+193], s[sgprBeta], v192, v[vgprValuC+193], op_sel:[0,0,0] op_sel_hi:[0,1,0] // //C*=beta
v_cvt_f16_f32 v[vgprValuC+193], v[vgprValuC+193]   // convert C to fp16
_buffer_store_b16 v193, v6, s[sgprSrdD:sgprSrdD+3], 0, offen, offset:64,  sc0 sc1 // store D

s_waitcnt vmcnt(63)                                // wait C (interleaved) 121 = 122 - 93 + 93 - 1
v_fma_mix_f32 v[vgprValuC+195], s[sgprBeta], v194, v[vgprValuC+195], op_sel:[0,0,0] op_sel_hi:[0,1,0] // //C*=beta
v_cvt_f16_f32 v[vgprValuC+195], v[vgprValuC+195]   // convert C to fp16
_buffer_store_b16 v195, v6, s[sgprSrdD:sgprSrdD+3], 0, offen, offset:128,  sc0 sc1 // store D

s_waitcnt vmcnt(63)                                // wait C (interleaved) 121 = 122 - 94 + 94 - 1
v_fma_mix_f32 v[vgprValuC+197], s[sgprBeta], v196, v[vgprValuC+197], op_sel:[0,0,0] op_sel_hi:[0,1,0] // //C*=beta
v_cvt_f16_f32 v[vgprValuC+197], v[vgprValuC+197]   // convert C to fp16
_buffer_store_b16 v197, v6, s[sgprSrdD:sgprSrdD+3], 0, offen, offset:192,  sc0 sc1 // store D

s_waitcnt vmcnt(63)                                // wait C (interleaved) 121 = 122 - 95 + 95 - 1
v_fma_mix_f32 v[vgprValuC+199], s[sgprBeta], v198, v[vgprValuC+199], op_sel:[0,0,0] op_sel_hi:[0,1,0] // //C*=beta
v_cvt_f16_f32 v[vgprValuC+199], v[vgprValuC+199]   // convert C to fp16
_buffer_store_b16 v199, v6, s[sgprSrdD:sgprSrdD+3], 0, offen, offset:256,  sc0 sc1 // store D

s_waitcnt vmcnt(63)                                // wait C (interleaved) 121 = 122 - 96 + 96 - 1
v_fma_mix_f32 v[vgprValuC+201], s[sgprBeta], v200, v[vgprValuC+201], op_sel:[0,0,0] op_sel_hi:[0,1,0] // //C*=beta
v_cvt_f16_f32 v[vgprValuC+201], v[vgprValuC+201]   // convert C to fp16
_buffer_store_b16 v201, v6, s[sgprSrdD:sgprSrdD+3], 0, offen, offset:320,  sc0 sc1 // store D

s_waitcnt vmcnt(63)                                // wait C (interleaved) 121 = 122 - 97 + 97 - 1
v_fma_mix_f32 v[vgprValuC+203], s[sgprBeta], v202, v[vgprValuC+203], op_sel:[0,0,0] op_sel_hi:[0,1,0] // //C*=beta
v_cvt_f16_f32 v[vgprValuC+203], v[vgprValuC+203]   // convert C to fp16
_buffer_store_b16 v203, v6, s[sgprSrdD:sgprSrdD+3], 0, offen, offset:384,  sc0 sc1 // store D

s_waitcnt vmcnt(63)                                // wait C (interleaved) 121 = 122 - 98 + 98 - 1
v_fma_mix_f32 v[vgprValuC+205], s[sgprBeta], v204, v[vgprValuC+205], op_sel:[0,0,0] op_sel_hi:[0,1,0] // //C*=beta
v_cvt_f16_f32 v[vgprValuC+205], v[vgprValuC+205]   // convert C to fp16
s_lshl_b32  s54, s[sgprStrideD1J], 1               // incToNextRow: Scale by BPE
	;; [unrolled: 38-line block ×3, first 2 shown]
s_add_u32  s[sgprSrdD+0], s[sgprSrdD+0], s54       // incToNextRow: gra SRD += inc(lower)
s_addc_u32  s[sgprSrdD+1], s[sgprSrdD+1], 0        // incToNextRow: gra SRD += inc(upper)
_buffer_store_b16 v219, v6, s[sgprSrdD:sgprSrdD+3], 0, offen, offset:0,  sc0 sc1 // store D

s_waitcnt vmcnt(63)                                // wait C (interleaved) 121 = 122 - 106 + 106 - 1
v_fma_mix_f32 v[vgprValuC+221], s[sgprBeta], v220, v[vgprValuC+221], op_sel:[0,0,0] op_sel_hi:[0,1,0] // //C*=beta
v_cvt_f16_f32 v[vgprValuC+221], v[vgprValuC+221]   // convert C to fp16
_buffer_store_b16 v221, v6, s[sgprSrdD:sgprSrdD+3], 0, offen, offset:64,  sc0 sc1 // store D

s_waitcnt vmcnt(63)                                // wait C (interleaved) 121 = 122 - 107 + 107 - 1
v_fma_mix_f32 v[vgprValuC+223], s[sgprBeta], v222, v[vgprValuC+223], op_sel:[0,0,0] op_sel_hi:[0,1,0] // //C*=beta
v_cvt_f16_f32 v[vgprValuC+223], v[vgprValuC+223]   // convert C to fp16
	;; [unrolled: 5-line block ×7, first 2 shown]
s_mul_i32 s54, s[sgprStrideD1J], 58                // scale StrideD *= numRows(29) * bpe
s_add_u32  s[sgprSrdD+0], s[sgprSrdD+0], s54       // incToNextRow: gra SRD += inc(lower)
s_addc_u32  s[sgprSrdD+1], s[sgprSrdD+1], 0        // incToNextRow: gra SRD += inc(upper)
_buffer_store_b16 v233, v6, s[sgprSrdD:sgprSrdD+3], 0, offen, offset:0,  sc0 sc1 // store D

s_waitcnt vmcnt(63)                                // wait C (interleaved) 121 = 122 - 113 + 113 - 1
v_fma_mix_f32 v[vgprValuC+235], s[sgprBeta], v234, v[vgprValuC+235], op_sel:[0,0,0] op_sel_hi:[0,1,0] // //C*=beta
v_cvt_f16_f32 v[vgprValuC+235], v[vgprValuC+235]   // convert C to fp16
_buffer_store_b16 v235, v6, s[sgprSrdD:sgprSrdD+3], 0, offen, offset:64,  sc0 sc1 // store D

s_waitcnt vmcnt(63)                                // wait C (interleaved) 121 = 122 - 114 + 114 - 1
v_fma_mix_f32 v[vgprValuC+237], s[sgprBeta], v236, v[vgprValuC+237], op_sel:[0,0,0] op_sel_hi:[0,1,0] // //C*=beta
v_cvt_f16_f32 v[vgprValuC+237], v[vgprValuC+237]   // convert C to fp16
	;; [unrolled: 5-line block ×7, first 2 shown]
s_lshl_b32  s54, s[sgprStrideD1J], 1               // incToNextRow: Scale by BPE
s_add_u32  s[sgprSrdD+0], s[sgprSrdD+0], s54       // incToNextRow: gra SRD += inc(lower)
s_addc_u32  s[sgprSrdD+1], s[sgprSrdD+1], 0        // incToNextRow: gra SRD += inc(upper)
_buffer_store_b16 v250, v6, s[sgprSrdD:sgprSrdD+3], 0, offen, offset:0,  sc0 sc1 // store D

s_waitcnt vmcnt(63)                                // wait C (interleaved) 121 = 122 - 120 + 120 - 1
v_fma_mix_f32 v[vgprValuC+252], s[sgprBeta], v251, v[vgprValuC+252], op_sel:[0,0,0] op_sel_hi:[0,1,0] // //C*=beta
v_cvt_f16_f32 v[vgprValuC+252], v[vgprValuC+252]   // convert C to fp16
_buffer_store_b16 v252, v6, s[sgprSrdD:sgprSrdD+3], 0, offen, offset:64,  sc0 sc1 // store D

s_waitcnt vmcnt(63)                                // wait C (interleaved) 121 = 122 - 121 + 121 - 1
v_fma_mix_f32 v[vgprValuC+254], s[sgprBeta], v253, v[vgprValuC+254], op_sel:[0,0,0] op_sel_hi:[0,1,0] // //C*=beta
v_cvt_f16_f32 v[vgprValuC+254], v[vgprValuC+254]   // convert C to fp16
_buffer_store_b16 v254, v6, s[sgprSrdD:sgprSrdD+3], 0, offen, offset:128,  sc0 sc1 // store D
s_nop 0                                            // 1 wait state required when next inst writes vgprs held by previous dwordx4 store inst
/* optSingleColVgpr=1 optSharedColVgpr=0 optSGPRUsage=BufferLoad_Mask optSrdIncForRow=1 */
s_sleep 5 // optimization: sync and wait
s_barrier

/******************************************/
/* Global Write Alpha Beta Batch #1 (d1,d0,vc1,vc0) = */
/*    (4,3,1,0:vw1); (4,4,1,0:vw1); (4,5,1,0:vw1); (4,6,1,0:vw1); (4,0,2,0:vw1); (4,1,2,0:vw1); (4,2,2,0:vw1); (4,3,2,0:vw1); (4,4,2,0:vw1); (4,5,2,0:vw1); (4,6,2,0:vw1); (4,0,3,0:vw1); (4,1,3,0:vw1); (4,2,3,0:vw1); (4,3,3,0:vw1); (4,4,3,0:vw1); (4,5,3,0:vw1); (4,6,3,0:vw1); (5,0,0,0:vw1); (5,1,0,0:vw1); (5,2,0,0:vw1); (5,3,0,0:vw1); (5,4,0,0:vw1); (5,5,0,0:vw1); (5,6,0,0:vw1); (5,0,1,0:vw1); (5,1,1,0:vw1); (5,2,1,0:vw1); (5,3,1,0:vw1); (5,4,1,0:vw1); (5,5,1,0:vw1); (5,6,1,0:vw1); (5,0,2,0:vw1); (5,1,2,0:vw1); (5,2,2,0:vw1); (5,3,2,0:vw1); (5,4,2,0:vw1); (5,5,2,0:vw1); (5,6,2,0:vw1); (5,0,3,0:vw1); (5,1,3,0:vw1); (5,2,3,0:vw1); (5,3,3,0:vw1); (5,4,3,0:vw1); (5,5,3,0:vw1); (5,6,3,0:vw1); (6,0,0,0:vw1); (6,1,0,0:vw1); (6,2,0,0:vw1); (6,3,0,0:vw1); (6,4,0,0:vw1); (6,5,0,0:vw1); (6,6,0,0:vw1); (6,0,1,0:vw1); (6,1,1,0:vw1); (6,2,1,0:vw1); (6,3,1,0:vw1); (6,4,1,0:vw1); (6,5,1,0:vw1); (6,6,1,0:vw1); (6,0,2,0:vw1); (6,1,2,0:vw1); (6,2,2,0:vw1); (6,3,2,0:vw1); (6,4,2,0:vw1); (6,5,2,0:vw1); (6,6,2,0:vw1); (6,0,3,0:vw1); (6,1,3,0:vw1); (6,2,3,0:vw1); (6,3,3,0:vw1); (6,4,3,0:vw1); (6,5,3,0:vw1); (6,6,3,0:vw1); (7,0,0,0:vw1); (7,1,0,0:vw1); (7,2,0,0:vw1); (7,3,0,0:vw1); (7,4,0,0:vw1); (7,5,0,0:vw1); (7,6,0,0:vw1); (7,0,1,0:vw1); (7,1,1,0:vw1); (7,2,1,0:vw1); (7,3,1,0:vw1); (7,4,1,0:vw1); (7,5,1,0:vw1); (7,6,1,0:vw1); (7,0,2,0:vw1); (7,1,2,0:vw1); (7,2,2,0:vw1); (7,3,2,0:vw1); (7,4,2,0:vw1); (7,5,2,0:vw1); (7,6,2,0:vw1); (7,0,3,0:vw1); (7,1,3,0:vw1); (7,2,3,0:vw1); (7,3,3,0:vw1); (7,4,3,0:vw1); (7,5,3,0:vw1); (7,6,3,0:vw1) */
/******************************************/

/* calc coords, apply mask, and issue loads (if necessary) */
/* (d1,vc1,d0,vc0)=(4,1,3,0) */
_buffer_load_d16_b16 v8, v7, s[sgprSrdC:sgprSrdC+3], 0, offen offset:192,  sc0 sc1 // load C for beta calc
/* (d1,vc1,d0,vc0)=(4,1,4,0) */
_buffer_load_d16_b16 v10, v7, s[sgprSrdC:sgprSrdC+3], 0, offen offset:256,  sc0 sc1 // load C for beta calc
	;; [unrolled: 2-line block ×4, first 2 shown]
/* (d1,vc1,d0,vc0)=(4,2,0,0) */
s_lshl_b32  s54, s[sgprStrideC1J], 1               // incToNextRow: Scale by BPE
s_add_u32  s[sgprSrdC+0], s[sgprSrdC+0], s54       // incToNextRow: gra SRD += inc(lower)
s_addc_u32  s[sgprSrdC+1], s[sgprSrdC+1], 0        // incToNextRow: gra SRD += inc(upper)
_buffer_load_d16_b16 v16, v7, s[sgprSrdC:sgprSrdC+3], 0, offen offset:0,  sc0 sc1 // load C for beta calc
/* (d1,vc1,d0,vc0)=(4,2,1,0) */
_buffer_load_d16_b16 v18, v7, s[sgprSrdC:sgprSrdC+3], 0, offen offset:64,  sc0 sc1 // load C for beta calc
/* (d1,vc1,d0,vc0)=(4,2,2,0) */
	;; [unrolled: 2-line block ×7, first 2 shown]
s_lshl_b32  s54, s[sgprStrideC1J], 1               // incToNextRow: Scale by BPE
s_add_u32  s[sgprSrdC+0], s[sgprSrdC+0], s54       // incToNextRow: gra SRD += inc(lower)
s_addc_u32  s[sgprSrdC+1], s[sgprSrdC+1], 0        // incToNextRow: gra SRD += inc(upper)
_buffer_load_d16_b16 v30, v7, s[sgprSrdC:sgprSrdC+3], 0, offen offset:0,  sc0 sc1 // load C for beta calc
/* (d1,vc1,d0,vc0)=(4,3,1,0) */
_buffer_load_d16_b16 v32, v7, s[sgprSrdC:sgprSrdC+3], 0, offen offset:64,  sc0 sc1 // load C for beta calc
/* (d1,vc1,d0,vc0)=(4,3,2,0) */
	;; [unrolled: 2-line block ×7, first 2 shown]
s_mul_i32 s54, s[sgprStrideC1J], 58                // scale StrideC *= numRows(29) * bpe
s_add_u32  s[sgprSrdC+0], s[sgprSrdC+0], s54       // incToNextRow: gra SRD += inc(lower)
s_addc_u32  s[sgprSrdC+1], s[sgprSrdC+1], 0        // incToNextRow: gra SRD += inc(upper)
_buffer_load_d16_b16 v44, v7, s[sgprSrdC:sgprSrdC+3], 0, offen offset:0,  sc0 sc1 // load C for beta calc
/* (d1,vc1,d0,vc0)=(5,0,1,0) */
_buffer_load_d16_b16 v46, v7, s[sgprSrdC:sgprSrdC+3], 0, offen offset:64,  sc0 sc1 // load C for beta calc
/* (d1,vc1,d0,vc0)=(5,0,2,0) */
_buffer_load_d16_b16 v48, v7, s[sgprSrdC:sgprSrdC+3], 0, offen offset:128,  sc0 sc1 // load C for beta calc
/* (d1,vc1,d0,vc0)=(5,0,3,0) */
_buffer_load_d16_b16 v50, v7, s[sgprSrdC:sgprSrdC+3], 0, offen offset:192,  sc0 sc1 // load C for beta calc
/* (d1,vc1,d0,vc0)=(5,0,4,0) */
_buffer_load_d16_b16 v52, v7, s[sgprSrdC:sgprSrdC+3], 0, offen offset:256,  sc0 sc1 // load C for beta calc
/* (d1,vc1,d0,vc0)=(5,0,5,0) */
_buffer_load_d16_b16 v54, v7, s[sgprSrdC:sgprSrdC+3], 0, offen offset:320,  sc0 sc1 // load C for beta calc
/* (d1,vc1,d0,vc0)=(5,0,6,0) */
_buffer_load_d16_b16 v56, v7, s[sgprSrdC:sgprSrdC+3], 0, offen offset:384,  sc0 sc1 // load C for beta calc
/* (d1,vc1,d0,vc0)=(5,1,0,0) */
s_lshl_b32  s54, s[sgprStrideC1J], 1               // incToNextRow: Scale by BPE
s_add_u32  s[sgprSrdC+0], s[sgprSrdC+0], s54       // incToNextRow: gra SRD += inc(lower)
s_addc_u32  s[sgprSrdC+1], s[sgprSrdC+1], 0        // incToNextRow: gra SRD += inc(upper)
_buffer_load_d16_b16 v58, v7, s[sgprSrdC:sgprSrdC+3], 0, offen offset:0,  sc0 sc1 // load C for beta calc
/* (d1,vc1,d0,vc0)=(5,1,1,0) */
_buffer_load_d16_b16 v60, v7, s[sgprSrdC:sgprSrdC+3], 0, offen offset:64,  sc0 sc1 // load C for beta calc
/* (d1,vc1,d0,vc0)=(5,1,2,0) */
_buffer_load_d16_b16 v62, v7, s[sgprSrdC:sgprSrdC+3], 0, offen offset:128,  sc0 sc1 // load C for beta calc
/* (d1,vc1,d0,vc0)=(5,1,3,0) */
_buffer_load_d16_b16 v64, v7, s[sgprSrdC:sgprSrdC+3], 0, offen offset:192,  sc0 sc1 // load C for beta calc
/* (d1,vc1,d0,vc0)=(5,1,4,0) */
_buffer_load_d16_b16 v66, v7, s[sgprSrdC:sgprSrdC+3], 0, offen offset:256,  sc0 sc1 // load C for beta calc
/* (d1,vc1,d0,vc0)=(5,1,5,0) */
_buffer_load_d16_b16 v68, v7, s[sgprSrdC:sgprSrdC+3], 0, offen offset:320,  sc0 sc1 // load C for beta calc
/* (d1,vc1,d0,vc0)=(5,1,6,0) */
_buffer_load_d16_b16 v70, v7, s[sgprSrdC:sgprSrdC+3], 0, offen offset:384,  sc0 sc1 // load C for beta calc
/* (d1,vc1,d0,vc0)=(5,2,0,0) */
s_lshl_b32  s54, s[sgprStrideC1J], 1               // incToNextRow: Scale by BPE
	;; [unrolled: 17-line block ×3, first 2 shown]
s_add_u32  s[sgprSrdC+0], s[sgprSrdC+0], s54       // incToNextRow: gra SRD += inc(lower)
s_addc_u32  s[sgprSrdC+1], s[sgprSrdC+1], 0        // incToNextRow: gra SRD += inc(upper)
_buffer_load_d16_b16 v86, v7, s[sgprSrdC:sgprSrdC+3], 0, offen offset:0,  sc0 sc1 // load C for beta calc
/* (d1,vc1,d0,vc0)=(5,3,1,0) */
_buffer_load_d16_b16 v88, v7, s[sgprSrdC:sgprSrdC+3], 0, offen offset:64,  sc0 sc1 // load C for beta calc
/* (d1,vc1,d0,vc0)=(5,3,2,0) */
	;; [unrolled: 2-line block ×7, first 2 shown]
s_mul_i32 s54, s[sgprStrideC1J], 58                // scale StrideC *= numRows(29) * bpe
s_add_u32  s[sgprSrdC+0], s[sgprSrdC+0], s54       // incToNextRow: gra SRD += inc(lower)
s_addc_u32  s[sgprSrdC+1], s[sgprSrdC+1], 0        // incToNextRow: gra SRD += inc(upper)
_buffer_load_d16_b16 v100, v7, s[sgprSrdC:sgprSrdC+3], 0, offen offset:0,  sc0 sc1 // load C for beta calc
/* (d1,vc1,d0,vc0)=(6,0,1,0) */
_buffer_load_d16_b16 v102, v7, s[sgprSrdC:sgprSrdC+3], 0, offen offset:64,  sc0 sc1 // load C for beta calc
/* (d1,vc1,d0,vc0)=(6,0,2,0) */
_buffer_load_d16_b16 v104, v7, s[sgprSrdC:sgprSrdC+3], 0, offen offset:128,  sc0 sc1 // load C for beta calc
/* (d1,vc1,d0,vc0)=(6,0,3,0) */
_buffer_load_d16_b16 v106, v7, s[sgprSrdC:sgprSrdC+3], 0, offen offset:192,  sc0 sc1 // load C for beta calc
/* (d1,vc1,d0,vc0)=(6,0,4,0) */
_buffer_load_d16_b16 v108, v7, s[sgprSrdC:sgprSrdC+3], 0, offen offset:256,  sc0 sc1 // load C for beta calc
/* (d1,vc1,d0,vc0)=(6,0,5,0) */
_buffer_load_d16_b16 v110, v7, s[sgprSrdC:sgprSrdC+3], 0, offen offset:320,  sc0 sc1 // load C for beta calc
/* (d1,vc1,d0,vc0)=(6,0,6,0) */
_buffer_load_d16_b16 v112, v7, s[sgprSrdC:sgprSrdC+3], 0, offen offset:384,  sc0 sc1 // load C for beta calc
/* (d1,vc1,d0,vc0)=(6,1,0,0) */
s_lshl_b32  s54, s[sgprStrideC1J], 1               // incToNextRow: Scale by BPE
s_add_u32  s[sgprSrdC+0], s[sgprSrdC+0], s54       // incToNextRow: gra SRD += inc(lower)
s_addc_u32  s[sgprSrdC+1], s[sgprSrdC+1], 0        // incToNextRow: gra SRD += inc(upper)
_buffer_load_d16_b16 v114, v7, s[sgprSrdC:sgprSrdC+3], 0, offen offset:0,  sc0 sc1 // load C for beta calc
/* (d1,vc1,d0,vc0)=(6,1,1,0) */
_buffer_load_d16_b16 v116, v7, s[sgprSrdC:sgprSrdC+3], 0, offen offset:64,  sc0 sc1 // load C for beta calc
/* (d1,vc1,d0,vc0)=(6,1,2,0) */
_buffer_load_d16_b16 v118, v7, s[sgprSrdC:sgprSrdC+3], 0, offen offset:128,  sc0 sc1 // load C for beta calc
/* (d1,vc1,d0,vc0)=(6,1,3,0) */
_buffer_load_d16_b16 v120, v7, s[sgprSrdC:sgprSrdC+3], 0, offen offset:192,  sc0 sc1 // load C for beta calc
/* (d1,vc1,d0,vc0)=(6,1,4,0) */
_buffer_load_d16_b16 v122, v7, s[sgprSrdC:sgprSrdC+3], 0, offen offset:256,  sc0 sc1 // load C for beta calc
/* (d1,vc1,d0,vc0)=(6,1,5,0) */
_buffer_load_d16_b16 v124, v7, s[sgprSrdC:sgprSrdC+3], 0, offen offset:320,  sc0 sc1 // load C for beta calc
/* (d1,vc1,d0,vc0)=(6,1,6,0) */
_buffer_load_d16_b16 v126, v7, s[sgprSrdC:sgprSrdC+3], 0, offen offset:384,  sc0 sc1 // load C for beta calc
/* (d1,vc1,d0,vc0)=(6,2,0,0) */
s_lshl_b32  s54, s[sgprStrideC1J], 1               // incToNextRow: Scale by BPE
	;; [unrolled: 17-line block ×3, first 2 shown]
s_add_u32  s[sgprSrdC+0], s[sgprSrdC+0], s54       // incToNextRow: gra SRD += inc(lower)
s_addc_u32  s[sgprSrdC+1], s[sgprSrdC+1], 0        // incToNextRow: gra SRD += inc(upper)
_buffer_load_d16_b16 v142, v7, s[sgprSrdC:sgprSrdC+3], 0, offen offset:0,  sc0 sc1 // load C for beta calc
/* (d1,vc1,d0,vc0)=(6,3,1,0) */
_buffer_load_d16_b16 v144, v7, s[sgprSrdC:sgprSrdC+3], 0, offen offset:64,  sc0 sc1 // load C for beta calc
/* (d1,vc1,d0,vc0)=(6,3,2,0) */
	;; [unrolled: 2-line block ×7, first 2 shown]
s_mul_i32 s54, s[sgprStrideC1J], 58                // scale StrideC *= numRows(29) * bpe
s_add_u32  s[sgprSrdC+0], s[sgprSrdC+0], s54       // incToNextRow: gra SRD += inc(lower)
s_addc_u32  s[sgprSrdC+1], s[sgprSrdC+1], 0        // incToNextRow: gra SRD += inc(upper)
_buffer_load_d16_b16 v156, v7, s[sgprSrdC:sgprSrdC+3], 0, offen offset:0,  sc0 sc1 // load C for beta calc
/* (d1,vc1,d0,vc0)=(7,0,1,0) */
_buffer_load_d16_b16 v158, v7, s[sgprSrdC:sgprSrdC+3], 0, offen offset:64,  sc0 sc1 // load C for beta calc
/* (d1,vc1,d0,vc0)=(7,0,2,0) */
_buffer_load_d16_b16 v160, v7, s[sgprSrdC:sgprSrdC+3], 0, offen offset:128,  sc0 sc1 // load C for beta calc
/* (d1,vc1,d0,vc0)=(7,0,3,0) */
_buffer_load_d16_b16 v162, v7, s[sgprSrdC:sgprSrdC+3], 0, offen offset:192,  sc0 sc1 // load C for beta calc
/* (d1,vc1,d0,vc0)=(7,0,4,0) */
_buffer_load_d16_b16 v164, v7, s[sgprSrdC:sgprSrdC+3], 0, offen offset:256,  sc0 sc1 // load C for beta calc
/* (d1,vc1,d0,vc0)=(7,0,5,0) */
_buffer_load_d16_b16 v166, v7, s[sgprSrdC:sgprSrdC+3], 0, offen offset:320,  sc0 sc1 // load C for beta calc
/* (d1,vc1,d0,vc0)=(7,0,6,0) */
_buffer_load_d16_b16 v168, v7, s[sgprSrdC:sgprSrdC+3], 0, offen offset:384,  sc0 sc1 // load C for beta calc
/* (d1,vc1,d0,vc0)=(7,1,0,0) */
s_lshl_b32  s54, s[sgprStrideC1J], 1               // incToNextRow: Scale by BPE
s_add_u32  s[sgprSrdC+0], s[sgprSrdC+0], s54       // incToNextRow: gra SRD += inc(lower)
s_addc_u32  s[sgprSrdC+1], s[sgprSrdC+1], 0        // incToNextRow: gra SRD += inc(upper)
_buffer_load_d16_b16 v170, v7, s[sgprSrdC:sgprSrdC+3], 0, offen offset:0,  sc0 sc1 // load C for beta calc
/* (d1,vc1,d0,vc0)=(7,1,1,0) */
_buffer_load_d16_b16 v172, v7, s[sgprSrdC:sgprSrdC+3], 0, offen offset:64,  sc0 sc1 // load C for beta calc
/* (d1,vc1,d0,vc0)=(7,1,2,0) */
_buffer_load_d16_b16 v174, v7, s[sgprSrdC:sgprSrdC+3], 0, offen offset:128,  sc0 sc1 // load C for beta calc
/* (d1,vc1,d0,vc0)=(7,1,3,0) */
_buffer_load_d16_b16 v176, v7, s[sgprSrdC:sgprSrdC+3], 0, offen offset:192,  sc0 sc1 // load C for beta calc
/* (d1,vc1,d0,vc0)=(7,1,4,0) */
_buffer_load_d16_b16 v178, v7, s[sgprSrdC:sgprSrdC+3], 0, offen offset:256,  sc0 sc1 // load C for beta calc
/* (d1,vc1,d0,vc0)=(7,1,5,0) */
_buffer_load_d16_b16 v180, v7, s[sgprSrdC:sgprSrdC+3], 0, offen offset:320,  sc0 sc1 // load C for beta calc
/* (d1,vc1,d0,vc0)=(7,1,6,0) */
_buffer_load_d16_b16 v182, v7, s[sgprSrdC:sgprSrdC+3], 0, offen offset:384,  sc0 sc1 // load C for beta calc
/* (d1,vc1,d0,vc0)=(7,2,0,0) */
s_lshl_b32  s54, s[sgprStrideC1J], 1               // incToNextRow: Scale by BPE
	;; [unrolled: 17-line block ×3, first 2 shown]
s_add_u32  s[sgprSrdC+0], s[sgprSrdC+0], s54       // incToNextRow: gra SRD += inc(lower)
s_addc_u32  s[sgprSrdC+1], s[sgprSrdC+1], 0        // incToNextRow: gra SRD += inc(upper)
_buffer_load_d16_b16 v198, v7, s[sgprSrdC:sgprSrdC+3], 0, offen offset:0,  sc0 sc1 // load C for beta calc
/* (d1,vc1,d0,vc0)=(7,3,1,0) */
_buffer_load_d16_b16 v200, v7, s[sgprSrdC:sgprSrdC+3], 0, offen offset:64,  sc0 sc1 // load C for beta calc
/* (d1,vc1,d0,vc0)=(7,3,2,0) */
	;; [unrolled: 2-line block ×6, first 2 shown]
_buffer_load_d16_b16 v210, v7, s[sgprSrdC:sgprSrdC+3], 0, offen offset:384,  sc0 sc1 // load C for beta calc
s_sleep 5 // optimization: sync and wait
s_barrier
v_accvgpr_read_b32 v[vgprValuC+9], acc125 // copy acc to vreg[122]
v_accvgpr_read_b32 v[vgprValuC+11], acc129 // copy acc to vreg[123]
v_accvgpr_read_b32 v[vgprValuC+13], acc133 // copy acc to vreg[124]
v_accvgpr_read_b32 v[vgprValuC+15], acc137 // copy acc to vreg[125]
v_accvgpr_read_b32 v[vgprValuC+17], acc114 // copy acc to vreg[126]
v_accvgpr_read_b32 v[vgprValuC+19], acc118 // copy acc to vreg[127]
v_accvgpr_read_b32 v[vgprValuC+21], acc122 // copy acc to vreg[128]
v_accvgpr_read_b32 v[vgprValuC+23], acc126 // copy acc to vreg[129]
v_accvgpr_read_b32 v[vgprValuC+25], acc130 // copy acc to vreg[130]
v_accvgpr_read_b32 v[vgprValuC+27], acc134 // copy acc to vreg[131]
v_accvgpr_read_b32 v[vgprValuC+29], acc138 // copy acc to vreg[132]
v_accvgpr_read_b32 v[vgprValuC+31], acc115 // copy acc to vreg[133]
v_accvgpr_read_b32 v[vgprValuC+33], acc119 // copy acc to vreg[134]
v_accvgpr_read_b32 v[vgprValuC+35], acc123 // copy acc to vreg[135]
v_accvgpr_read_b32 v[vgprValuC+37], acc127 // copy acc to vreg[136]
v_accvgpr_read_b32 v[vgprValuC+39], acc131 // copy acc to vreg[137]
v_accvgpr_read_b32 v[vgprValuC+41], acc135 // copy acc to vreg[138]
v_accvgpr_read_b32 v[vgprValuC+43], acc139 // copy acc to vreg[139]
v_accvgpr_read_b32 v[vgprValuC+45], acc140 // copy acc to vreg[140]
v_accvgpr_read_b32 v[vgprValuC+47], acc144 // copy acc to vreg[141]
v_accvgpr_read_b32 v[vgprValuC+49], acc148 // copy acc to vreg[142]
v_accvgpr_read_b32 v[vgprValuC+51], acc152 // copy acc to vreg[143]
v_accvgpr_read_b32 v[vgprValuC+53], acc156 // copy acc to vreg[144]
v_accvgpr_read_b32 v[vgprValuC+55], acc160 // copy acc to vreg[145]
v_accvgpr_read_b32 v[vgprValuC+57], acc164 // copy acc to vreg[146]
v_accvgpr_read_b32 v[vgprValuC+59], acc141 // copy acc to vreg[147]
v_accvgpr_read_b32 v[vgprValuC+61], acc145 // copy acc to vreg[148]
v_accvgpr_read_b32 v[vgprValuC+63], acc149 // copy acc to vreg[149]
v_accvgpr_read_b32 v[vgprValuC+65], acc153 // copy acc to vreg[150]
v_accvgpr_read_b32 v[vgprValuC+67], acc157 // copy acc to vreg[151]
v_accvgpr_read_b32 v[vgprValuC+69], acc161 // copy acc to vreg[152]
v_accvgpr_read_b32 v[vgprValuC+71], acc165 // copy acc to vreg[153]
v_accvgpr_read_b32 v[vgprValuC+73], acc142 // copy acc to vreg[154]
v_accvgpr_read_b32 v[vgprValuC+75], acc146 // copy acc to vreg[155]
v_accvgpr_read_b32 v[vgprValuC+77], acc150 // copy acc to vreg[156]
v_accvgpr_read_b32 v[vgprValuC+79], acc154 // copy acc to vreg[157]
v_accvgpr_read_b32 v[vgprValuC+81], acc158 // copy acc to vreg[158]
v_accvgpr_read_b32 v[vgprValuC+83], acc162 // copy acc to vreg[159]
v_accvgpr_read_b32 v[vgprValuC+85], acc166 // copy acc to vreg[160]
v_accvgpr_read_b32 v[vgprValuC+87], acc143 // copy acc to vreg[161]
v_accvgpr_read_b32 v[vgprValuC+89], acc147 // copy acc to vreg[162]
v_accvgpr_read_b32 v[vgprValuC+91], acc151 // copy acc to vreg[163]
v_accvgpr_read_b32 v[vgprValuC+93], acc155 // copy acc to vreg[164]
v_accvgpr_read_b32 v[vgprValuC+95], acc159 // copy acc to vreg[165]
v_accvgpr_read_b32 v[vgprValuC+97], acc163 // copy acc to vreg[166]
v_accvgpr_read_b32 v[vgprValuC+99], acc167 // copy acc to vreg[167]
v_accvgpr_read_b32 v[vgprValuC+101], acc168 // copy acc to vreg[168]
v_accvgpr_read_b32 v[vgprValuC+103], acc172 // copy acc to vreg[169]
v_accvgpr_read_b32 v[vgprValuC+105], acc176 // copy acc to vreg[170]
v_accvgpr_read_b32 v[vgprValuC+107], acc180 // copy acc to vreg[171]
v_accvgpr_read_b32 v[vgprValuC+109], acc184 // copy acc to vreg[172]
v_accvgpr_read_b32 v[vgprValuC+111], acc188 // copy acc to vreg[173]
v_accvgpr_read_b32 v[vgprValuC+113], acc192 // copy acc to vreg[174]
v_accvgpr_read_b32 v[vgprValuC+115], acc169 // copy acc to vreg[175]
v_accvgpr_read_b32 v[vgprValuC+117], acc173 // copy acc to vreg[176]
v_accvgpr_read_b32 v[vgprValuC+119], acc177 // copy acc to vreg[177]
v_accvgpr_read_b32 v[vgprValuC+121], acc181 // copy acc to vreg[178]
v_accvgpr_read_b32 v[vgprValuC+123], acc185 // copy acc to vreg[179]
v_accvgpr_read_b32 v[vgprValuC+125], acc189 // copy acc to vreg[180]
v_accvgpr_read_b32 v[vgprValuC+127], acc193 // copy acc to vreg[181]
v_accvgpr_read_b32 v[vgprValuC+129], acc170 // copy acc to vreg[182]
v_accvgpr_read_b32 v[vgprValuC+131], acc174 // copy acc to vreg[183]
v_accvgpr_read_b32 v[vgprValuC+133], acc178 // copy acc to vreg[184]
v_accvgpr_read_b32 v[vgprValuC+135], acc182 // copy acc to vreg[185]
v_accvgpr_read_b32 v[vgprValuC+137], acc186 // copy acc to vreg[186]
v_accvgpr_read_b32 v[vgprValuC+139], acc190 // copy acc to vreg[187]
v_accvgpr_read_b32 v[vgprValuC+141], acc194 // copy acc to vreg[188]
v_accvgpr_read_b32 v[vgprValuC+143], acc171 // copy acc to vreg[189]
v_accvgpr_read_b32 v[vgprValuC+145], acc175 // copy acc to vreg[190]
v_accvgpr_read_b32 v[vgprValuC+147], acc179 // copy acc to vreg[191]
v_accvgpr_read_b32 v[vgprValuC+149], acc183 // copy acc to vreg[192]
v_accvgpr_read_b32 v[vgprValuC+151], acc187 // copy acc to vreg[193]
v_accvgpr_read_b32 v[vgprValuC+153], acc191 // copy acc to vreg[194]
v_accvgpr_read_b32 v[vgprValuC+155], acc195 // copy acc to vreg[195]
v_accvgpr_read_b32 v[vgprValuC+157], acc196 // copy acc to vreg[196]
v_accvgpr_read_b32 v[vgprValuC+159], acc200 // copy acc to vreg[197]
v_accvgpr_read_b32 v[vgprValuC+161], acc204 // copy acc to vreg[198]
v_accvgpr_read_b32 v[vgprValuC+163], acc208 // copy acc to vreg[199]
v_accvgpr_read_b32 v[vgprValuC+165], acc212 // copy acc to vreg[200]
v_accvgpr_read_b32 v[vgprValuC+167], acc216 // copy acc to vreg[201]
v_accvgpr_read_b32 v[vgprValuC+169], acc220 // copy acc to vreg[202]
v_accvgpr_read_b32 v[vgprValuC+171], acc197 // copy acc to vreg[203]
v_accvgpr_read_b32 v[vgprValuC+173], acc201 // copy acc to vreg[204]
v_accvgpr_read_b32 v[vgprValuC+175], acc205 // copy acc to vreg[205]
v_accvgpr_read_b32 v[vgprValuC+177], acc209 // copy acc to vreg[206]
v_accvgpr_read_b32 v[vgprValuC+179], acc213 // copy acc to vreg[207]
v_accvgpr_read_b32 v[vgprValuC+181], acc217 // copy acc to vreg[208]
v_accvgpr_read_b32 v[vgprValuC+183], acc221 // copy acc to vreg[209]
v_accvgpr_read_b32 v[vgprValuC+185], acc198 // copy acc to vreg[210]
v_accvgpr_read_b32 v[vgprValuC+187], acc202 // copy acc to vreg[211]
v_accvgpr_read_b32 v[vgprValuC+189], acc206 // copy acc to vreg[212]
v_accvgpr_read_b32 v[vgprValuC+191], acc210 // copy acc to vreg[213]
v_accvgpr_read_b32 v[vgprValuC+193], acc214 // copy acc to vreg[214]
v_accvgpr_read_b32 v[vgprValuC+195], acc218 // copy acc to vreg[215]
v_accvgpr_read_b32 v[vgprValuC+197], acc222 // copy acc to vreg[216]
v_accvgpr_read_b32 v[vgprValuC+199], acc199 // copy acc to vreg[217]
v_accvgpr_read_b32 v[vgprValuC+201], acc203 // copy acc to vreg[218]
v_accvgpr_read_b32 v[vgprValuC+203], acc207 // copy acc to vreg[219]
v_accvgpr_read_b32 v[vgprValuC+205], acc211 // copy acc to vreg[220]
v_accvgpr_read_b32 v[vgprValuC+207], acc215 // copy acc to vreg[221]
v_accvgpr_read_b32 v[vgprValuC+209], acc219 // copy acc to vreg[222]
v_accvgpr_read_b32 v[vgprValuC+211], acc223 // copy acc to vreg[223]
s_nop 1                                            // 2 wait states required before reading vgpr

/* rC *= alpha batchElements=[(4, 3, 1, 0), (4, 4, 1, 0), (4, 5, 1, 0), (4, 6, 1, 0), (4, 0, 2, 0), (4, 1, 2, 0), (4, 2, 2, 0), (4, 3, 2, 0), (4, 4, 2, 0), (4, 5, 2, 0), (4, 6, 2, 0), (4, 0, 3, 0), (4, 1, 3, 0), (4, 2, 3, 0), (4, 3, 3, 0), (4, 4, 3, 0), (4, 5, 3, 0), (4, 6, 3, 0), (5, 0, 0, 0), (5, 1, 0, 0), (5, 2, 0, 0), (5, 3, 0, 0), (5, 4, 0, 0), (5, 5, 0, 0), (5, 6, 0, 0), (5, 0, 1, 0), (5, 1, 1, 0), (5, 2, 1, 0), (5, 3, 1, 0), (5, 4, 1, 0), (5, 5, 1, 0), (5, 6, 1, 0), (5, 0, 2, 0), (5, 1, 2, 0), (5, 2, 2, 0), (5, 3, 2, 0), (5, 4, 2, 0), (5, 5, 2, 0), (5, 6, 2, 0), (5, 0, 3, 0), (5, 1, 3, 0), (5, 2, 3, 0), (5, 3, 3, 0), (5, 4, 3, 0), (5, 5, 3, 0), (5, 6, 3, 0), (6, 0, 0, 0), (6, 1, 0, 0), (6, 2, 0, 0), (6, 3, 0, 0), (6, 4, 0, 0), (6, 5, 0, 0), (6, 6, 0, 0), (6, 0, 1, 0), (6, 1, 1, 0), (6, 2, 1, 0), (6, 3, 1, 0), (6, 4, 1, 0), (6, 5, 1, 0), (6, 6, 1, 0), (6, 0, 2, 0), (6, 1, 2, 0), (6, 2, 2, 0), (6, 3, 2, 0), (6, 4, 2, 0), (6, 5, 2, 0), (6, 6, 2, 0), (6, 0, 3, 0), (6, 1, 3, 0), (6, 2, 3, 0), (6, 3, 3, 0), (6, 4, 3, 0), (6, 5, 3, 0), (6, 6, 3, 0), (7, 0, 0, 0), (7, 1, 0, 0), (7, 2, 0, 0), (7, 3, 0, 0), (7, 4, 0, 0), (7, 5, 0, 0), (7, 6, 0, 0), (7, 0, 1, 0), (7, 1, 1, 0), (7, 2, 1, 0), (7, 3, 1, 0), (7, 4, 1, 0), (7, 5, 1, 0), (7, 6, 1, 0), (7, 0, 2, 0), (7, 1, 2, 0), (7, 2, 2, 0), (7, 3, 2, 0), (7, 4, 2, 0), (7, 5, 2, 0), (7, 6, 2, 0), (7, 0, 3, 0), (7, 1, 3, 0), (7, 2, 3, 0), (7, 3, 3, 0), (7, 4, 3, 0), (7, 5, 3, 0), (7, 6, 3, 0)] */
v_mul_f32 v[vgprValuC+9], s[sgprAlpha], v[vgprValuC+9] // *= alpha
v_mul_f32 v[vgprValuC+11], s[sgprAlpha], v[vgprValuC+11] // *= alpha
	;; [unrolled: 1-line block ×102, first 2 shown]

/* apply mask, calc new C and issue writes */

s_waitcnt vmcnt(63)                                // wait C (interleaved) 101 = 102 - 0 + 0 - 1
v_fma_mix_f32 v[vgprValuC+9], s[sgprBeta], v8, v[vgprValuC+9], op_sel:[0,0,0] op_sel_hi:[0,1,0] // //C*=beta
v_cvt_f16_f32 v[vgprValuC+9], v[vgprValuC+9]       // convert C to fp16
_buffer_store_b16 v9, v6, s[sgprSrdD:sgprSrdD+3], 0, offen, offset:192,  sc0 sc1 // store D

s_waitcnt vmcnt(63)                                // wait C (interleaved) 101 = 102 - 1 + 1 - 1
v_fma_mix_f32 v[vgprValuC+11], s[sgprBeta], v10, v[vgprValuC+11], op_sel:[0,0,0] op_sel_hi:[0,1,0] // //C*=beta
v_cvt_f16_f32 v[vgprValuC+11], v[vgprValuC+11]     // convert C to fp16
_buffer_store_b16 v11, v6, s[sgprSrdD:sgprSrdD+3], 0, offen, offset:256,  sc0 sc1 // store D

s_waitcnt vmcnt(63)                                // wait C (interleaved) 101 = 102 - 2 + 2 - 1
v_fma_mix_f32 v[vgprValuC+13], s[sgprBeta], v12, v[vgprValuC+13], op_sel:[0,0,0] op_sel_hi:[0,1,0] // //C*=beta
v_cvt_f16_f32 v[vgprValuC+13], v[vgprValuC+13]     // convert C to fp16
	;; [unrolled: 5-line block ×4, first 2 shown]
s_lshl_b32  s54, s[sgprStrideD1J], 1               // incToNextRow: Scale by BPE
s_add_u32  s[sgprSrdD+0], s[sgprSrdD+0], s54       // incToNextRow: gra SRD += inc(lower)
s_addc_u32  s[sgprSrdD+1], s[sgprSrdD+1], 0        // incToNextRow: gra SRD += inc(upper)
_buffer_store_b16 v17, v6, s[sgprSrdD:sgprSrdD+3], 0, offen, offset:0,  sc0 sc1 // store D

s_waitcnt vmcnt(63)                                // wait C (interleaved) 101 = 102 - 5 + 5 - 1
v_fma_mix_f32 v[vgprValuC+19], s[sgprBeta], v18, v[vgprValuC+19], op_sel:[0,0,0] op_sel_hi:[0,1,0] // //C*=beta
v_cvt_f16_f32 v[vgprValuC+19], v[vgprValuC+19]     // convert C to fp16
_buffer_store_b16 v19, v6, s[sgprSrdD:sgprSrdD+3], 0, offen, offset:64,  sc0 sc1 // store D

s_waitcnt vmcnt(63)                                // wait C (interleaved) 101 = 102 - 6 + 6 - 1
v_fma_mix_f32 v[vgprValuC+21], s[sgprBeta], v20, v[vgprValuC+21], op_sel:[0,0,0] op_sel_hi:[0,1,0] // //C*=beta
v_cvt_f16_f32 v[vgprValuC+21], v[vgprValuC+21]     // convert C to fp16
	;; [unrolled: 5-line block ×7, first 2 shown]
s_lshl_b32  s54, s[sgprStrideD1J], 1               // incToNextRow: Scale by BPE
s_add_u32  s[sgprSrdD+0], s[sgprSrdD+0], s54       // incToNextRow: gra SRD += inc(lower)
s_addc_u32  s[sgprSrdD+1], s[sgprSrdD+1], 0        // incToNextRow: gra SRD += inc(upper)
_buffer_store_b16 v31, v6, s[sgprSrdD:sgprSrdD+3], 0, offen, offset:0,  sc0 sc1 // store D

s_waitcnt vmcnt(63)                                // wait C (interleaved) 101 = 102 - 12 + 12 - 1
v_fma_mix_f32 v[vgprValuC+33], s[sgprBeta], v32, v[vgprValuC+33], op_sel:[0,0,0] op_sel_hi:[0,1,0] // //C*=beta
v_cvt_f16_f32 v[vgprValuC+33], v[vgprValuC+33]     // convert C to fp16
_buffer_store_b16 v33, v6, s[sgprSrdD:sgprSrdD+3], 0, offen, offset:64,  sc0 sc1 // store D

s_waitcnt vmcnt(63)                                // wait C (interleaved) 101 = 102 - 13 + 13 - 1
v_fma_mix_f32 v[vgprValuC+35], s[sgprBeta], v34, v[vgprValuC+35], op_sel:[0,0,0] op_sel_hi:[0,1,0] // //C*=beta
v_cvt_f16_f32 v[vgprValuC+35], v[vgprValuC+35]     // convert C to fp16
	;; [unrolled: 5-line block ×7, first 2 shown]
s_mul_i32 s54, s[sgprStrideD1J], 58                // scale StrideD *= numRows(29) * bpe
s_add_u32  s[sgprSrdD+0], s[sgprSrdD+0], s54       // incToNextRow: gra SRD += inc(lower)
s_addc_u32  s[sgprSrdD+1], s[sgprSrdD+1], 0        // incToNextRow: gra SRD += inc(upper)
_buffer_store_b16 v45, v6, s[sgprSrdD:sgprSrdD+3], 0, offen, offset:0,  sc0 sc1 // store D

s_waitcnt vmcnt(63)                                // wait C (interleaved) 101 = 102 - 19 + 19 - 1
v_fma_mix_f32 v[vgprValuC+47], s[sgprBeta], v46, v[vgprValuC+47], op_sel:[0,0,0] op_sel_hi:[0,1,0] // //C*=beta
v_cvt_f16_f32 v[vgprValuC+47], v[vgprValuC+47]     // convert C to fp16
_buffer_store_b16 v47, v6, s[sgprSrdD:sgprSrdD+3], 0, offen, offset:64,  sc0 sc1 // store D

s_waitcnt vmcnt(63)                                // wait C (interleaved) 101 = 102 - 20 + 20 - 1
v_fma_mix_f32 v[vgprValuC+49], s[sgprBeta], v48, v[vgprValuC+49], op_sel:[0,0,0] op_sel_hi:[0,1,0] // //C*=beta
v_cvt_f16_f32 v[vgprValuC+49], v[vgprValuC+49]     // convert C to fp16
_buffer_store_b16 v49, v6, s[sgprSrdD:sgprSrdD+3], 0, offen, offset:128,  sc0 sc1 // store D

s_waitcnt vmcnt(63)                                // wait C (interleaved) 101 = 102 - 21 + 21 - 1
v_fma_mix_f32 v[vgprValuC+51], s[sgprBeta], v50, v[vgprValuC+51], op_sel:[0,0,0] op_sel_hi:[0,1,0] // //C*=beta
v_cvt_f16_f32 v[vgprValuC+51], v[vgprValuC+51]     // convert C to fp16
_buffer_store_b16 v51, v6, s[sgprSrdD:sgprSrdD+3], 0, offen, offset:192,  sc0 sc1 // store D

s_waitcnt vmcnt(63)                                // wait C (interleaved) 101 = 102 - 22 + 22 - 1
v_fma_mix_f32 v[vgprValuC+53], s[sgprBeta], v52, v[vgprValuC+53], op_sel:[0,0,0] op_sel_hi:[0,1,0] // //C*=beta
v_cvt_f16_f32 v[vgprValuC+53], v[vgprValuC+53]     // convert C to fp16
_buffer_store_b16 v53, v6, s[sgprSrdD:sgprSrdD+3], 0, offen, offset:256,  sc0 sc1 // store D

s_waitcnt vmcnt(63)                                // wait C (interleaved) 101 = 102 - 23 + 23 - 1
v_fma_mix_f32 v[vgprValuC+55], s[sgprBeta], v54, v[vgprValuC+55], op_sel:[0,0,0] op_sel_hi:[0,1,0] // //C*=beta
v_cvt_f16_f32 v[vgprValuC+55], v[vgprValuC+55]     // convert C to fp16
_buffer_store_b16 v55, v6, s[sgprSrdD:sgprSrdD+3], 0, offen, offset:320,  sc0 sc1 // store D

s_waitcnt vmcnt(63)                                // wait C (interleaved) 101 = 102 - 24 + 24 - 1
v_fma_mix_f32 v[vgprValuC+57], s[sgprBeta], v56, v[vgprValuC+57], op_sel:[0,0,0] op_sel_hi:[0,1,0] // //C*=beta
v_cvt_f16_f32 v[vgprValuC+57], v[vgprValuC+57]     // convert C to fp16
_buffer_store_b16 v57, v6, s[sgprSrdD:sgprSrdD+3], 0, offen, offset:384,  sc0 sc1 // store D

s_waitcnt vmcnt(63)                                // wait C (interleaved) 101 = 102 - 25 + 25 - 1
v_fma_mix_f32 v[vgprValuC+59], s[sgprBeta], v58, v[vgprValuC+59], op_sel:[0,0,0] op_sel_hi:[0,1,0] // //C*=beta
v_cvt_f16_f32 v[vgprValuC+59], v[vgprValuC+59]     // convert C to fp16
s_lshl_b32  s54, s[sgprStrideD1J], 1               // incToNextRow: Scale by BPE
s_add_u32  s[sgprSrdD+0], s[sgprSrdD+0], s54       // incToNextRow: gra SRD += inc(lower)
s_addc_u32  s[sgprSrdD+1], s[sgprSrdD+1], 0        // incToNextRow: gra SRD += inc(upper)
_buffer_store_b16 v59, v6, s[sgprSrdD:sgprSrdD+3], 0, offen, offset:0,  sc0 sc1 // store D

s_waitcnt vmcnt(63)                                // wait C (interleaved) 101 = 102 - 26 + 26 - 1
v_fma_mix_f32 v[vgprValuC+61], s[sgprBeta], v60, v[vgprValuC+61], op_sel:[0,0,0] op_sel_hi:[0,1,0] // //C*=beta
v_cvt_f16_f32 v[vgprValuC+61], v[vgprValuC+61]     // convert C to fp16
_buffer_store_b16 v61, v6, s[sgprSrdD:sgprSrdD+3], 0, offen, offset:64,  sc0 sc1 // store D

s_waitcnt vmcnt(63)                                // wait C (interleaved) 101 = 102 - 27 + 27 - 1
v_fma_mix_f32 v[vgprValuC+63], s[sgprBeta], v62, v[vgprValuC+63], op_sel:[0,0,0] op_sel_hi:[0,1,0] // //C*=beta
v_cvt_f16_f32 v[vgprValuC+63], v[vgprValuC+63]     // convert C to fp16
_buffer_store_b16 v63, v6, s[sgprSrdD:sgprSrdD+3], 0, offen, offset:128,  sc0 sc1 // store D

s_waitcnt vmcnt(63)                                // wait C (interleaved) 101 = 102 - 28 + 28 - 1
v_fma_mix_f32 v[vgprValuC+65], s[sgprBeta], v64, v[vgprValuC+65], op_sel:[0,0,0] op_sel_hi:[0,1,0] // //C*=beta
v_cvt_f16_f32 v[vgprValuC+65], v[vgprValuC+65]     // convert C to fp16
_buffer_store_b16 v65, v6, s[sgprSrdD:sgprSrdD+3], 0, offen, offset:192,  sc0 sc1 // store D

s_waitcnt vmcnt(63)                                // wait C (interleaved) 101 = 102 - 29 + 29 - 1
v_fma_mix_f32 v[vgprValuC+67], s[sgprBeta], v66, v[vgprValuC+67], op_sel:[0,0,0] op_sel_hi:[0,1,0] // //C*=beta
v_cvt_f16_f32 v[vgprValuC+67], v[vgprValuC+67]     // convert C to fp16
_buffer_store_b16 v67, v6, s[sgprSrdD:sgprSrdD+3], 0, offen, offset:256,  sc0 sc1 // store D

s_waitcnt vmcnt(63)                                // wait C (interleaved) 101 = 102 - 30 + 30 - 1
v_fma_mix_f32 v[vgprValuC+69], s[sgprBeta], v68, v[vgprValuC+69], op_sel:[0,0,0] op_sel_hi:[0,1,0] // //C*=beta
v_cvt_f16_f32 v[vgprValuC+69], v[vgprValuC+69]     // convert C to fp16
_buffer_store_b16 v69, v6, s[sgprSrdD:sgprSrdD+3], 0, offen, offset:320,  sc0 sc1 // store D

s_waitcnt vmcnt(63)                                // wait C (interleaved) 101 = 102 - 31 + 31 - 1
v_fma_mix_f32 v[vgprValuC+71], s[sgprBeta], v70, v[vgprValuC+71], op_sel:[0,0,0] op_sel_hi:[0,1,0] // //C*=beta
v_cvt_f16_f32 v[vgprValuC+71], v[vgprValuC+71]     // convert C to fp16
_buffer_store_b16 v71, v6, s[sgprSrdD:sgprSrdD+3], 0, offen, offset:384,  sc0 sc1 // store D

s_waitcnt vmcnt(63)                                // wait C (interleaved) 101 = 102 - 32 + 32 - 1
v_fma_mix_f32 v[vgprValuC+73], s[sgprBeta], v72, v[vgprValuC+73], op_sel:[0,0,0] op_sel_hi:[0,1,0] // //C*=beta
v_cvt_f16_f32 v[vgprValuC+73], v[vgprValuC+73]     // convert C to fp16
s_lshl_b32  s54, s[sgprStrideD1J], 1               // incToNextRow: Scale by BPE
	;; [unrolled: 38-line block ×3, first 2 shown]
s_add_u32  s[sgprSrdD+0], s[sgprSrdD+0], s54       // incToNextRow: gra SRD += inc(lower)
s_addc_u32  s[sgprSrdD+1], s[sgprSrdD+1], 0        // incToNextRow: gra SRD += inc(upper)
_buffer_store_b16 v87, v6, s[sgprSrdD:sgprSrdD+3], 0, offen, offset:0,  sc0 sc1 // store D

s_waitcnt vmcnt(63)                                // wait C (interleaved) 101 = 102 - 40 + 40 - 1
v_fma_mix_f32 v[vgprValuC+89], s[sgprBeta], v88, v[vgprValuC+89], op_sel:[0,0,0] op_sel_hi:[0,1,0] // //C*=beta
v_cvt_f16_f32 v[vgprValuC+89], v[vgprValuC+89]     // convert C to fp16
_buffer_store_b16 v89, v6, s[sgprSrdD:sgprSrdD+3], 0, offen, offset:64,  sc0 sc1 // store D

s_waitcnt vmcnt(63)                                // wait C (interleaved) 101 = 102 - 41 + 41 - 1
v_fma_mix_f32 v[vgprValuC+91], s[sgprBeta], v90, v[vgprValuC+91], op_sel:[0,0,0] op_sel_hi:[0,1,0] // //C*=beta
v_cvt_f16_f32 v[vgprValuC+91], v[vgprValuC+91]     // convert C to fp16
	;; [unrolled: 5-line block ×6, first 2 shown]
_buffer_store_b16 v99, v6, s[sgprSrdD:sgprSrdD+3], 0, offen, offset:384,  sc0 sc1 // store D

s_waitcnt vmcnt(63)                                // wait C (interleaved) 101 = 102 - 46 + 46 - 1
v_fma_mix_f32 v[vgprValuC+101], s[sgprBeta], v100, v[vgprValuC+101], op_sel:[0,0,0] op_sel_hi:[0,1,0] // //C*=beta
v_cvt_f16_f32 v[vgprValuC+101], v[vgprValuC+101]   // convert C to fp16
s_mul_i32 s54, s[sgprStrideD1J], 58                // scale StrideD *= numRows(29) * bpe
s_add_u32  s[sgprSrdD+0], s[sgprSrdD+0], s54       // incToNextRow: gra SRD += inc(lower)
s_addc_u32  s[sgprSrdD+1], s[sgprSrdD+1], 0        // incToNextRow: gra SRD += inc(upper)
_buffer_store_b16 v101, v6, s[sgprSrdD:sgprSrdD+3], 0, offen, offset:0,  sc0 sc1 // store D

s_waitcnt vmcnt(63)                                // wait C (interleaved) 101 = 102 - 47 + 47 - 1
v_fma_mix_f32 v[vgprValuC+103], s[sgprBeta], v102, v[vgprValuC+103], op_sel:[0,0,0] op_sel_hi:[0,1,0] // //C*=beta
v_cvt_f16_f32 v[vgprValuC+103], v[vgprValuC+103]   // convert C to fp16
_buffer_store_b16 v103, v6, s[sgprSrdD:sgprSrdD+3], 0, offen, offset:64,  sc0 sc1 // store D

s_waitcnt vmcnt(63)                                // wait C (interleaved) 101 = 102 - 48 + 48 - 1
v_fma_mix_f32 v[vgprValuC+105], s[sgprBeta], v104, v[vgprValuC+105], op_sel:[0,0,0] op_sel_hi:[0,1,0] // //C*=beta
v_cvt_f16_f32 v[vgprValuC+105], v[vgprValuC+105]   // convert C to fp16
_buffer_store_b16 v105, v6, s[sgprSrdD:sgprSrdD+3], 0, offen, offset:128,  sc0 sc1 // store D

s_waitcnt vmcnt(63)                                // wait C (interleaved) 101 = 102 - 49 + 49 - 1
v_fma_mix_f32 v[vgprValuC+107], s[sgprBeta], v106, v[vgprValuC+107], op_sel:[0,0,0] op_sel_hi:[0,1,0] // //C*=beta
v_cvt_f16_f32 v[vgprValuC+107], v[vgprValuC+107]   // convert C to fp16
_buffer_store_b16 v107, v6, s[sgprSrdD:sgprSrdD+3], 0, offen, offset:192,  sc0 sc1 // store D

s_waitcnt vmcnt(63)                                // wait C (interleaved) 101 = 102 - 50 + 50 - 1
v_fma_mix_f32 v[vgprValuC+109], s[sgprBeta], v108, v[vgprValuC+109], op_sel:[0,0,0] op_sel_hi:[0,1,0] // //C*=beta
v_cvt_f16_f32 v[vgprValuC+109], v[vgprValuC+109]   // convert C to fp16
_buffer_store_b16 v109, v6, s[sgprSrdD:sgprSrdD+3], 0, offen, offset:256,  sc0 sc1 // store D

s_waitcnt vmcnt(63)                                // wait C (interleaved) 101 = 102 - 51 + 51 - 1
v_fma_mix_f32 v[vgprValuC+111], s[sgprBeta], v110, v[vgprValuC+111], op_sel:[0,0,0] op_sel_hi:[0,1,0] // //C*=beta
v_cvt_f16_f32 v[vgprValuC+111], v[vgprValuC+111]   // convert C to fp16
_buffer_store_b16 v111, v6, s[sgprSrdD:sgprSrdD+3], 0, offen, offset:320,  sc0 sc1 // store D

s_waitcnt vmcnt(63)                                // wait C (interleaved) 101 = 102 - 52 + 52 - 1
v_fma_mix_f32 v[vgprValuC+113], s[sgprBeta], v112, v[vgprValuC+113], op_sel:[0,0,0] op_sel_hi:[0,1,0] // //C*=beta
v_cvt_f16_f32 v[vgprValuC+113], v[vgprValuC+113]   // convert C to fp16
_buffer_store_b16 v113, v6, s[sgprSrdD:sgprSrdD+3], 0, offen, offset:384,  sc0 sc1 // store D

s_waitcnt vmcnt(63)                                // wait C (interleaved) 101 = 102 - 53 + 53 - 1
v_fma_mix_f32 v[vgprValuC+115], s[sgprBeta], v114, v[vgprValuC+115], op_sel:[0,0,0] op_sel_hi:[0,1,0] // //C*=beta
v_cvt_f16_f32 v[vgprValuC+115], v[vgprValuC+115]   // convert C to fp16
s_lshl_b32  s54, s[sgprStrideD1J], 1               // incToNextRow: Scale by BPE
s_add_u32  s[sgprSrdD+0], s[sgprSrdD+0], s54       // incToNextRow: gra SRD += inc(lower)
s_addc_u32  s[sgprSrdD+1], s[sgprSrdD+1], 0        // incToNextRow: gra SRD += inc(upper)
_buffer_store_b16 v115, v6, s[sgprSrdD:sgprSrdD+3], 0, offen, offset:0,  sc0 sc1 // store D

s_waitcnt vmcnt(63)                                // wait C (interleaved) 101 = 102 - 54 + 54 - 1
v_fma_mix_f32 v[vgprValuC+117], s[sgprBeta], v116, v[vgprValuC+117], op_sel:[0,0,0] op_sel_hi:[0,1,0] // //C*=beta
v_cvt_f16_f32 v[vgprValuC+117], v[vgprValuC+117]   // convert C to fp16
_buffer_store_b16 v117, v6, s[sgprSrdD:sgprSrdD+3], 0, offen, offset:64,  sc0 sc1 // store D

s_waitcnt vmcnt(63)                                // wait C (interleaved) 101 = 102 - 55 + 55 - 1
v_fma_mix_f32 v[vgprValuC+119], s[sgprBeta], v118, v[vgprValuC+119], op_sel:[0,0,0] op_sel_hi:[0,1,0] // //C*=beta
v_cvt_f16_f32 v[vgprValuC+119], v[vgprValuC+119]   // convert C to fp16
_buffer_store_b16 v119, v6, s[sgprSrdD:sgprSrdD+3], 0, offen, offset:128,  sc0 sc1 // store D

s_waitcnt vmcnt(63)                                // wait C (interleaved) 101 = 102 - 56 + 56 - 1
v_fma_mix_f32 v[vgprValuC+121], s[sgprBeta], v120, v[vgprValuC+121], op_sel:[0,0,0] op_sel_hi:[0,1,0] // //C*=beta
v_cvt_f16_f32 v[vgprValuC+121], v[vgprValuC+121]   // convert C to fp16
_buffer_store_b16 v121, v6, s[sgprSrdD:sgprSrdD+3], 0, offen, offset:192,  sc0 sc1 // store D

s_waitcnt vmcnt(63)                                // wait C (interleaved) 101 = 102 - 57 + 57 - 1
v_fma_mix_f32 v[vgprValuC+123], s[sgprBeta], v122, v[vgprValuC+123], op_sel:[0,0,0] op_sel_hi:[0,1,0] // //C*=beta
v_cvt_f16_f32 v[vgprValuC+123], v[vgprValuC+123]   // convert C to fp16
_buffer_store_b16 v123, v6, s[sgprSrdD:sgprSrdD+3], 0, offen, offset:256,  sc0 sc1 // store D

s_waitcnt vmcnt(63)                                // wait C (interleaved) 101 = 102 - 58 + 58 - 1
v_fma_mix_f32 v[vgprValuC+125], s[sgprBeta], v124, v[vgprValuC+125], op_sel:[0,0,0] op_sel_hi:[0,1,0] // //C*=beta
v_cvt_f16_f32 v[vgprValuC+125], v[vgprValuC+125]   // convert C to fp16
_buffer_store_b16 v125, v6, s[sgprSrdD:sgprSrdD+3], 0, offen, offset:320,  sc0 sc1 // store D

s_waitcnt vmcnt(63)                                // wait C (interleaved) 101 = 102 - 59 + 59 - 1
v_fma_mix_f32 v[vgprValuC+127], s[sgprBeta], v126, v[vgprValuC+127], op_sel:[0,0,0] op_sel_hi:[0,1,0] // //C*=beta
v_cvt_f16_f32 v[vgprValuC+127], v[vgprValuC+127]   // convert C to fp16
_buffer_store_b16 v127, v6, s[sgprSrdD:sgprSrdD+3], 0, offen, offset:384,  sc0 sc1 // store D

s_waitcnt vmcnt(63)                                // wait C (interleaved) 101 = 102 - 60 + 60 - 1
v_fma_mix_f32 v[vgprValuC+129], s[sgprBeta], v128, v[vgprValuC+129], op_sel:[0,0,0] op_sel_hi:[0,1,0] // //C*=beta
v_cvt_f16_f32 v[vgprValuC+129], v[vgprValuC+129]   // convert C to fp16
s_lshl_b32  s54, s[sgprStrideD1J], 1               // incToNextRow: Scale by BPE
	;; [unrolled: 38-line block ×3, first 2 shown]
s_add_u32  s[sgprSrdD+0], s[sgprSrdD+0], s54       // incToNextRow: gra SRD += inc(lower)
s_addc_u32  s[sgprSrdD+1], s[sgprSrdD+1], 0        // incToNextRow: gra SRD += inc(upper)
_buffer_store_b16 v143, v6, s[sgprSrdD:sgprSrdD+3], 0, offen, offset:0,  sc0 sc1 // store D

s_waitcnt vmcnt(63)                                // wait C (interleaved) 101 = 102 - 68 + 68 - 1
v_fma_mix_f32 v[vgprValuC+145], s[sgprBeta], v144, v[vgprValuC+145], op_sel:[0,0,0] op_sel_hi:[0,1,0] // //C*=beta
v_cvt_f16_f32 v[vgprValuC+145], v[vgprValuC+145]   // convert C to fp16
_buffer_store_b16 v145, v6, s[sgprSrdD:sgprSrdD+3], 0, offen, offset:64,  sc0 sc1 // store D

s_waitcnt vmcnt(63)                                // wait C (interleaved) 101 = 102 - 69 + 69 - 1
v_fma_mix_f32 v[vgprValuC+147], s[sgprBeta], v146, v[vgprValuC+147], op_sel:[0,0,0] op_sel_hi:[0,1,0] // //C*=beta
v_cvt_f16_f32 v[vgprValuC+147], v[vgprValuC+147]   // convert C to fp16
	;; [unrolled: 5-line block ×7, first 2 shown]
s_mul_i32 s54, s[sgprStrideD1J], 58                // scale StrideD *= numRows(29) * bpe
s_add_u32  s[sgprSrdD+0], s[sgprSrdD+0], s54       // incToNextRow: gra SRD += inc(lower)
s_addc_u32  s[sgprSrdD+1], s[sgprSrdD+1], 0        // incToNextRow: gra SRD += inc(upper)
_buffer_store_b16 v157, v6, s[sgprSrdD:sgprSrdD+3], 0, offen, offset:0,  sc0 sc1 // store D

s_waitcnt vmcnt(63)                                // wait C (interleaved) 101 = 102 - 75 + 75 - 1
v_fma_mix_f32 v[vgprValuC+159], s[sgprBeta], v158, v[vgprValuC+159], op_sel:[0,0,0] op_sel_hi:[0,1,0] // //C*=beta
v_cvt_f16_f32 v[vgprValuC+159], v[vgprValuC+159]   // convert C to fp16
_buffer_store_b16 v159, v6, s[sgprSrdD:sgprSrdD+3], 0, offen, offset:64,  sc0 sc1 // store D

s_waitcnt vmcnt(63)                                // wait C (interleaved) 101 = 102 - 76 + 76 - 1
v_fma_mix_f32 v[vgprValuC+161], s[sgprBeta], v160, v[vgprValuC+161], op_sel:[0,0,0] op_sel_hi:[0,1,0] // //C*=beta
v_cvt_f16_f32 v[vgprValuC+161], v[vgprValuC+161]   // convert C to fp16
_buffer_store_b16 v161, v6, s[sgprSrdD:sgprSrdD+3], 0, offen, offset:128,  sc0 sc1 // store D

s_waitcnt vmcnt(63)                                // wait C (interleaved) 101 = 102 - 77 + 77 - 1
v_fma_mix_f32 v[vgprValuC+163], s[sgprBeta], v162, v[vgprValuC+163], op_sel:[0,0,0] op_sel_hi:[0,1,0] // //C*=beta
v_cvt_f16_f32 v[vgprValuC+163], v[vgprValuC+163]   // convert C to fp16
_buffer_store_b16 v163, v6, s[sgprSrdD:sgprSrdD+3], 0, offen, offset:192,  sc0 sc1 // store D

s_waitcnt vmcnt(63)                                // wait C (interleaved) 101 = 102 - 78 + 78 - 1
v_fma_mix_f32 v[vgprValuC+165], s[sgprBeta], v164, v[vgprValuC+165], op_sel:[0,0,0] op_sel_hi:[0,1,0] // //C*=beta
v_cvt_f16_f32 v[vgprValuC+165], v[vgprValuC+165]   // convert C to fp16
_buffer_store_b16 v165, v6, s[sgprSrdD:sgprSrdD+3], 0, offen, offset:256,  sc0 sc1 // store D

s_waitcnt vmcnt(63)                                // wait C (interleaved) 101 = 102 - 79 + 79 - 1
v_fma_mix_f32 v[vgprValuC+167], s[sgprBeta], v166, v[vgprValuC+167], op_sel:[0,0,0] op_sel_hi:[0,1,0] // //C*=beta
v_cvt_f16_f32 v[vgprValuC+167], v[vgprValuC+167]   // convert C to fp16
_buffer_store_b16 v167, v6, s[sgprSrdD:sgprSrdD+3], 0, offen, offset:320,  sc0 sc1 // store D

s_waitcnt vmcnt(63)                                // wait C (interleaved) 101 = 102 - 80 + 80 - 1
v_fma_mix_f32 v[vgprValuC+169], s[sgprBeta], v168, v[vgprValuC+169], op_sel:[0,0,0] op_sel_hi:[0,1,0] // //C*=beta
v_cvt_f16_f32 v[vgprValuC+169], v[vgprValuC+169]   // convert C to fp16
_buffer_store_b16 v169, v6, s[sgprSrdD:sgprSrdD+3], 0, offen, offset:384,  sc0 sc1 // store D

s_waitcnt vmcnt(63)                                // wait C (interleaved) 101 = 102 - 81 + 81 - 1
v_fma_mix_f32 v[vgprValuC+171], s[sgprBeta], v170, v[vgprValuC+171], op_sel:[0,0,0] op_sel_hi:[0,1,0] // //C*=beta
v_cvt_f16_f32 v[vgprValuC+171], v[vgprValuC+171]   // convert C to fp16
s_lshl_b32  s54, s[sgprStrideD1J], 1               // incToNextRow: Scale by BPE
s_add_u32  s[sgprSrdD+0], s[sgprSrdD+0], s54       // incToNextRow: gra SRD += inc(lower)
s_addc_u32  s[sgprSrdD+1], s[sgprSrdD+1], 0        // incToNextRow: gra SRD += inc(upper)
_buffer_store_b16 v171, v6, s[sgprSrdD:sgprSrdD+3], 0, offen, offset:0,  sc0 sc1 // store D

s_waitcnt vmcnt(63)                                // wait C (interleaved) 101 = 102 - 82 + 82 - 1
v_fma_mix_f32 v[vgprValuC+173], s[sgprBeta], v172, v[vgprValuC+173], op_sel:[0,0,0] op_sel_hi:[0,1,0] // //C*=beta
v_cvt_f16_f32 v[vgprValuC+173], v[vgprValuC+173]   // convert C to fp16
_buffer_store_b16 v173, v6, s[sgprSrdD:sgprSrdD+3], 0, offen, offset:64,  sc0 sc1 // store D

s_waitcnt vmcnt(63)                                // wait C (interleaved) 101 = 102 - 83 + 83 - 1
v_fma_mix_f32 v[vgprValuC+175], s[sgprBeta], v174, v[vgprValuC+175], op_sel:[0,0,0] op_sel_hi:[0,1,0] // //C*=beta
v_cvt_f16_f32 v[vgprValuC+175], v[vgprValuC+175]   // convert C to fp16
_buffer_store_b16 v175, v6, s[sgprSrdD:sgprSrdD+3], 0, offen, offset:128,  sc0 sc1 // store D

s_waitcnt vmcnt(63)                                // wait C (interleaved) 101 = 102 - 84 + 84 - 1
v_fma_mix_f32 v[vgprValuC+177], s[sgprBeta], v176, v[vgprValuC+177], op_sel:[0,0,0] op_sel_hi:[0,1,0] // //C*=beta
v_cvt_f16_f32 v[vgprValuC+177], v[vgprValuC+177]   // convert C to fp16
_buffer_store_b16 v177, v6, s[sgprSrdD:sgprSrdD+3], 0, offen, offset:192,  sc0 sc1 // store D

s_waitcnt vmcnt(63)                                // wait C (interleaved) 101 = 102 - 85 + 85 - 1
v_fma_mix_f32 v[vgprValuC+179], s[sgprBeta], v178, v[vgprValuC+179], op_sel:[0,0,0] op_sel_hi:[0,1,0] // //C*=beta
v_cvt_f16_f32 v[vgprValuC+179], v[vgprValuC+179]   // convert C to fp16
_buffer_store_b16 v179, v6, s[sgprSrdD:sgprSrdD+3], 0, offen, offset:256,  sc0 sc1 // store D

s_waitcnt vmcnt(63)                                // wait C (interleaved) 101 = 102 - 86 + 86 - 1
v_fma_mix_f32 v[vgprValuC+181], s[sgprBeta], v180, v[vgprValuC+181], op_sel:[0,0,0] op_sel_hi:[0,1,0] // //C*=beta
v_cvt_f16_f32 v[vgprValuC+181], v[vgprValuC+181]   // convert C to fp16
_buffer_store_b16 v181, v6, s[sgprSrdD:sgprSrdD+3], 0, offen, offset:320,  sc0 sc1 // store D

s_waitcnt vmcnt(63)                                // wait C (interleaved) 101 = 102 - 87 + 87 - 1
v_fma_mix_f32 v[vgprValuC+183], s[sgprBeta], v182, v[vgprValuC+183], op_sel:[0,0,0] op_sel_hi:[0,1,0] // //C*=beta
v_cvt_f16_f32 v[vgprValuC+183], v[vgprValuC+183]   // convert C to fp16
_buffer_store_b16 v183, v6, s[sgprSrdD:sgprSrdD+3], 0, offen, offset:384,  sc0 sc1 // store D

s_waitcnt vmcnt(63)                                // wait C (interleaved) 101 = 102 - 88 + 88 - 1
v_fma_mix_f32 v[vgprValuC+185], s[sgprBeta], v184, v[vgprValuC+185], op_sel:[0,0,0] op_sel_hi:[0,1,0] // //C*=beta
v_cvt_f16_f32 v[vgprValuC+185], v[vgprValuC+185]   // convert C to fp16
s_lshl_b32  s54, s[sgprStrideD1J], 1               // incToNextRow: Scale by BPE
	;; [unrolled: 38-line block ×3, first 2 shown]
s_add_u32  s[sgprSrdD+0], s[sgprSrdD+0], s54       // incToNextRow: gra SRD += inc(lower)
s_addc_u32  s[sgprSrdD+1], s[sgprSrdD+1], 0        // incToNextRow: gra SRD += inc(upper)
_buffer_store_b16 v199, v6, s[sgprSrdD:sgprSrdD+3], 0, offen, offset:0,  sc0 sc1 // store D

s_waitcnt vmcnt(63)                                // wait C (interleaved) 101 = 102 - 96 + 96 - 1
v_fma_mix_f32 v[vgprValuC+201], s[sgprBeta], v200, v[vgprValuC+201], op_sel:[0,0,0] op_sel_hi:[0,1,0] // //C*=beta
v_cvt_f16_f32 v[vgprValuC+201], v[vgprValuC+201]   // convert C to fp16
_buffer_store_b16 v201, v6, s[sgprSrdD:sgprSrdD+3], 0, offen, offset:64,  sc0 sc1 // store D

s_waitcnt vmcnt(63)                                // wait C (interleaved) 101 = 102 - 97 + 97 - 1
v_fma_mix_f32 v[vgprValuC+203], s[sgprBeta], v202, v[vgprValuC+203], op_sel:[0,0,0] op_sel_hi:[0,1,0] // //C*=beta
v_cvt_f16_f32 v[vgprValuC+203], v[vgprValuC+203]   // convert C to fp16
	;; [unrolled: 5-line block ×6, first 2 shown]
_buffer_store_b16 v211, v6, s[sgprSrdD:sgprSrdD+3], 0, offen, offset:384,  sc0 sc1 // store D
s_nop 0                                            // 1 wait state required when next inst writes vgprs held by previous dwordx4 store inst
s_branch label_GW_End_44                           // jump to end
GW_B1_E1_43:

/* edge=1, allocate 6 sgpr. perBatchTmpS=4 perBatchMaskS=2 perElementMaskS=0 elementsPerBatch=80 */
/* optSingleColVgpr=0 optSharedColVgpr=0 optSGPRUsage=BufferLoad_Edge_Mask optSrdIncForRow=0 */
s_sleep 5 // optimization: sync and wait
s_barrier

/******************************************/
/* Global Write Alpha Beta Edge Batch #0 (d1,d0,vc1,vc0) = */
/*    (0,0,0,0:vw1); (0,1,0,0:vw1); (0,2,0,0:vw1); (0,3,0,0:vw1); (0,4,0,0:vw1); (0,5,0,0:vw1); (0,6,0,0:vw1); (0,0,1,0:vw1); (0,1,1,0:vw1); (0,2,1,0:vw1); (0,3,1,0:vw1); (0,4,1,0:vw1); (0,5,1,0:vw1); (0,6,1,0:vw1); (0,0,2,0:vw1); (0,1,2,0:vw1); (0,2,2,0:vw1); (0,3,2,0:vw1); (0,4,2,0:vw1); (0,5,2,0:vw1); (0,6,2,0:vw1); (0,0,3,0:vw1); (0,1,3,0:vw1); (0,2,3,0:vw1); (0,3,3,0:vw1); (0,4,3,0:vw1); (0,5,3,0:vw1); (0,6,3,0:vw1); (1,0,0,0:vw1); (1,1,0,0:vw1); (1,2,0,0:vw1); (1,3,0,0:vw1); (1,4,0,0:vw1); (1,5,0,0:vw1); (1,6,0,0:vw1); (1,0,1,0:vw1); (1,1,1,0:vw1); (1,2,1,0:vw1); (1,3,1,0:vw1); (1,4,1,0:vw1); (1,5,1,0:vw1); (1,6,1,0:vw1); (1,0,2,0:vw1); (1,1,2,0:vw1); (1,2,2,0:vw1); (1,3,2,0:vw1); (1,4,2,0:vw1); (1,5,2,0:vw1); (1,6,2,0:vw1); (1,0,3,0:vw1); (1,1,3,0:vw1); (1,2,3,0:vw1); (1,3,3,0:vw1); (1,4,3,0:vw1); (1,5,3,0:vw1); (1,6,3,0:vw1); (2,0,0,0:vw1); (2,1,0,0:vw1); (2,2,0,0:vw1); (2,3,0,0:vw1); (2,4,0,0:vw1); (2,5,0,0:vw1); (2,6,0,0:vw1); (2,0,1,0:vw1); (2,1,1,0:vw1); (2,2,1,0:vw1); (2,3,1,0:vw1); (2,4,1,0:vw1); (2,5,1,0:vw1); (2,6,1,0:vw1); (2,0,2,0:vw1); (2,1,2,0:vw1); (2,2,2,0:vw1); (2,3,2,0:vw1); (2,4,2,0:vw1); (2,5,2,0:vw1); (2,6,2,0:vw1); (2,0,3,0:vw1); (2,1,3,0:vw1); (2,2,3,0:vw1) */
/******************************************/

/* calc coords, apply mask, and issue loads (if necessary) */
/* (d1,vc1,d0,vc0)=(0,0,0,0) */
v_cmp_lt_u32 s[54:55], v0, s[sgprSizeI]            // coord0 < size0
v_cmp_lt_u32 s[58:59], v1, s[sgprSizeJ]            // coord1 < size1
s_and_b64 s[58:59], s[54:55], s[58:59]             // in0 && in1
_v_add_lshl_u32 v6, v2, v0, 0x1                    // scaleToBpe: accumulate d0 lower and *= bpe into Cin addr
v_cndmask_b32 v6, -1, v6, s[58:59]                 // LDC clip if OOB. offset
_buffer_load_d16_b16 v7, v6, s[sgprSrdC:sgprSrdC+3], 0, offen offset:0,  sc0 sc1 // load C for beta calc
_v_add_lshl_u32 v6, v3, v0, 0x1                    // scaleToBpe: accumulate d0 lower and *= bpe into Cin addr
v_cndmask_b32 v6, -1, v6, s[58:59]                 // LDD clip if OOB. offset
/* (d1,vc1,d0,vc0)=(0,0,1,0) */
_v_add_co_u32 v4, vcc, v0, 32                      // coord0.1: coord0 += d0*sg0*VW + vc0
v_cmp_lt_u32 s[54:55], v4, s[sgprSizeI]            // coord0 < size0
v_cmp_lt_u32 s[58:59], v1, s[sgprSizeJ]            // coord1 < size1
s_and_b64 s[58:59], s[54:55], s[58:59]             // in0 && in1
_v_add_lshl_u32 v9, v2, v4, 0x1                    // scaleToBpe: accumulate d0 lower and *= bpe into Cin addr
v_cndmask_b32 v9, -1, v9, s[58:59]                 // LDC clip if OOB. offset
_buffer_load_d16_b16 v10, v9, s[sgprSrdC:sgprSrdC+3], 0, offen offset:0,  sc0 sc1 // load C for beta calc
_v_add_lshl_u32 v9, v3, v4, 0x1                    // scaleToBpe: accumulate d0 lower and *= bpe into Cin addr
v_cndmask_b32 v9, -1, v9, s[58:59]                 // LDD clip if OOB. offset
/* (d1,vc1,d0,vc0)=(0,0,2,0) */
_v_add_co_u32 v4, vcc, v0, 64                      // coord0.1: coord0 += d0*sg0*VW + vc0
v_cmp_lt_u32 s[54:55], v4, s[sgprSizeI]            // coord0 < size0
v_cmp_lt_u32 s[58:59], v1, s[sgprSizeJ]            // coord1 < size1
s_and_b64 s[58:59], s[54:55], s[58:59]             // in0 && in1
_v_add_lshl_u32 v12, v2, v4, 0x1                   // scaleToBpe: accumulate d0 lower and *= bpe into Cin addr
v_cndmask_b32 v12, -1, v12, s[58:59]               // LDC clip if OOB. offset
_buffer_load_d16_b16 v13, v12, s[sgprSrdC:sgprSrdC+3], 0, offen offset:0,  sc0 sc1 // load C for beta calc
_v_add_lshl_u32 v12, v3, v4, 0x1                   // scaleToBpe: accumulate d0 lower and *= bpe into Cin addr
v_cndmask_b32 v12, -1, v12, s[58:59]               // LDD clip if OOB. offset
/* (d1,vc1,d0,vc0)=(0,0,3,0) */
s_mov_b32 s54, 96                                  // coordOffset0 d0=3 vc0=0
_v_add_co_u32 v4, vcc, v0, s54                     // coord0.2: coord0 += d0*sg0*VW + vc0
v_cmp_lt_u32 s[54:55], v4, s[sgprSizeI]            // coord0 < size0
v_cmp_lt_u32 s[58:59], v1, s[sgprSizeJ]            // coord1 < size1
s_and_b64 s[58:59], s[54:55], s[58:59]             // in0 && in1
_v_add_lshl_u32 v15, v2, v4, 0x1                   // scaleToBpe: accumulate d0 lower and *= bpe into Cin addr
v_cndmask_b32 v15, -1, v15, s[58:59]               // LDC clip if OOB. offset
_buffer_load_d16_b16 v16, v15, s[sgprSrdC:sgprSrdC+3], 0, offen offset:0,  sc0 sc1 // load C for beta calc
_v_add_lshl_u32 v15, v3, v4, 0x1                   // scaleToBpe: accumulate d0 lower and *= bpe into Cin addr
v_cndmask_b32 v15, -1, v15, s[58:59]               // LDD clip if OOB. offset
/* (d1,vc1,d0,vc0)=(0,0,4,0) */
s_mov_b32 s54, 128                                 // coordOffset0 d0=4 vc0=0
_v_add_co_u32 v4, vcc, v0, s54                     // coord0.2: coord0 += d0*sg0*VW + vc0
v_cmp_lt_u32 s[54:55], v4, s[sgprSizeI]            // coord0 < size0
v_cmp_lt_u32 s[58:59], v1, s[sgprSizeJ]            // coord1 < size1
s_and_b64 s[58:59], s[54:55], s[58:59]             // in0 && in1
_v_add_lshl_u32 v18, v2, v4, 0x1                   // scaleToBpe: accumulate d0 lower and *= bpe into Cin addr
v_cndmask_b32 v18, -1, v18, s[58:59]               // LDC clip if OOB. offset
_buffer_load_d16_b16 v19, v18, s[sgprSrdC:sgprSrdC+3], 0, offen offset:0,  sc0 sc1 // load C for beta calc
_v_add_lshl_u32 v18, v3, v4, 0x1                   // scaleToBpe: accumulate d0 lower and *= bpe into Cin addr
v_cndmask_b32 v18, -1, v18, s[58:59]               // LDD clip if OOB. offset
/* (d1,vc1,d0,vc0)=(0,0,5,0) */
s_mov_b32 s54, 160                                 // coordOffset0 d0=5 vc0=0
	;; [unrolled: 11-line block ×3, first 2 shown]
_v_add_co_u32 v4, vcc, v0, s54                     // coord0.2: coord0 += d0*sg0*VW + vc0
v_cmp_lt_u32 s[54:55], v4, s[sgprSizeI]            // coord0 < size0
v_cmp_lt_u32 s[58:59], v1, s[sgprSizeJ]            // coord1 < size1
s_and_b64 s[58:59], s[54:55], s[58:59]             // in0 && in1
_v_add_lshl_u32 v24, v2, v4, 0x1                   // scaleToBpe: accumulate d0 lower and *= bpe into Cin addr
v_cndmask_b32 v24, -1, v24, s[58:59]               // LDC clip if OOB. offset
_buffer_load_d16_b16 v25, v24, s[sgprSrdC:sgprSrdC+3], 0, offen offset:0,  sc0 sc1 // load C for beta calc
_v_add_lshl_u32 v24, v3, v4, 0x1                   // scaleToBpe: accumulate d0 lower and *= bpe into Cin addr
v_cndmask_b32 v24, -1, v24, s[58:59]               // LDD clip if OOB. offset
/* (d1,vc1,d0,vc0)=(0,1,0,0) */
_v_add_co_u32 v1, vcc, v1, 1                       // coord1.1: coord1Vgpr += d1*sg1*VW + vc1

/* Fix for UseInitialStridesCD, emitAddressSetupCode */
_v_add_u32 v2, v2, s[sgprStrideC1J]                // ROWINC- Move cinRowPtr to next row
_v_add_u32 v3, v3, s[sgprStrideD1J]                // Move coutRowPtr to next row
v_cmp_lt_u32 s[54:55], v0, s[sgprSizeI]            // coord0 < size0
v_cmp_lt_u32 s[58:59], v1, s[sgprSizeJ]            // coord1 < size1
s_and_b64 s[58:59], s[54:55], s[58:59]             // in0 && in1
_v_add_lshl_u32 v27, v2, v0, 0x1                   // scaleToBpe: accumulate d0 lower and *= bpe into Cin addr
v_cndmask_b32 v27, -1, v27, s[58:59]               // LDC clip if OOB. offset
_buffer_load_d16_b16 v28, v27, s[sgprSrdC:sgprSrdC+3], 0, offen offset:0,  sc0 sc1 // load C for beta calc
_v_add_lshl_u32 v27, v3, v0, 0x1                   // scaleToBpe: accumulate d0 lower and *= bpe into Cin addr
v_cndmask_b32 v27, -1, v27, s[58:59]               // LDD clip if OOB. offset
/* (d1,vc1,d0,vc0)=(0,1,1,0) */
_v_add_co_u32 v4, vcc, v0, 32                      // coord0.1: coord0 += d0*sg0*VW + vc0
v_cmp_lt_u32 s[54:55], v4, s[sgprSizeI]            // coord0 < size0
v_cmp_lt_u32 s[58:59], v1, s[sgprSizeJ]            // coord1 < size1
s_and_b64 s[58:59], s[54:55], s[58:59]             // in0 && in1
_v_add_lshl_u32 v30, v2, v4, 0x1                   // scaleToBpe: accumulate d0 lower and *= bpe into Cin addr
v_cndmask_b32 v30, -1, v30, s[58:59]               // LDC clip if OOB. offset
_buffer_load_d16_b16 v31, v30, s[sgprSrdC:sgprSrdC+3], 0, offen offset:0,  sc0 sc1 // load C for beta calc
_v_add_lshl_u32 v30, v3, v4, 0x1                   // scaleToBpe: accumulate d0 lower and *= bpe into Cin addr
v_cndmask_b32 v30, -1, v30, s[58:59]               // LDD clip if OOB. offset
/* (d1,vc1,d0,vc0)=(0,1,2,0) */
_v_add_co_u32 v4, vcc, v0, 64                      // coord0.1: coord0 += d0*sg0*VW + vc0
v_cmp_lt_u32 s[54:55], v4, s[sgprSizeI]            // coord0 < size0
v_cmp_lt_u32 s[58:59], v1, s[sgprSizeJ]            // coord1 < size1
s_and_b64 s[58:59], s[54:55], s[58:59]             // in0 && in1
_v_add_lshl_u32 v33, v2, v4, 0x1                   // scaleToBpe: accumulate d0 lower and *= bpe into Cin addr
v_cndmask_b32 v33, -1, v33, s[58:59]               // LDC clip if OOB. offset
_buffer_load_d16_b16 v34, v33, s[sgprSrdC:sgprSrdC+3], 0, offen offset:0,  sc0 sc1 // load C for beta calc
_v_add_lshl_u32 v33, v3, v4, 0x1                   // scaleToBpe: accumulate d0 lower and *= bpe into Cin addr
v_cndmask_b32 v33, -1, v33, s[58:59]               // LDD clip if OOB. offset
/* (d1,vc1,d0,vc0)=(0,1,3,0) */
s_mov_b32 s54, 96                                  // coordOffset0 d0=3 vc0=0
_v_add_co_u32 v4, vcc, v0, s54                     // coord0.2: coord0 += d0*sg0*VW + vc0
v_cmp_lt_u32 s[54:55], v4, s[sgprSizeI]            // coord0 < size0
v_cmp_lt_u32 s[58:59], v1, s[sgprSizeJ]            // coord1 < size1
s_and_b64 s[58:59], s[54:55], s[58:59]             // in0 && in1
_v_add_lshl_u32 v36, v2, v4, 0x1                   // scaleToBpe: accumulate d0 lower and *= bpe into Cin addr
v_cndmask_b32 v36, -1, v36, s[58:59]               // LDC clip if OOB. offset
_buffer_load_d16_b16 v37, v36, s[sgprSrdC:sgprSrdC+3], 0, offen offset:0,  sc0 sc1 // load C for beta calc
_v_add_lshl_u32 v36, v3, v4, 0x1                   // scaleToBpe: accumulate d0 lower and *= bpe into Cin addr
v_cndmask_b32 v36, -1, v36, s[58:59]               // LDD clip if OOB. offset
/* (d1,vc1,d0,vc0)=(0,1,4,0) */
s_mov_b32 s54, 128                                 // coordOffset0 d0=4 vc0=0
_v_add_co_u32 v4, vcc, v0, s54                     // coord0.2: coord0 += d0*sg0*VW + vc0
v_cmp_lt_u32 s[54:55], v4, s[sgprSizeI]            // coord0 < size0
v_cmp_lt_u32 s[58:59], v1, s[sgprSizeJ]            // coord1 < size1
s_and_b64 s[58:59], s[54:55], s[58:59]             // in0 && in1
_v_add_lshl_u32 v39, v2, v4, 0x1                   // scaleToBpe: accumulate d0 lower and *= bpe into Cin addr
v_cndmask_b32 v39, -1, v39, s[58:59]               // LDC clip if OOB. offset
_buffer_load_d16_b16 v40, v39, s[sgprSrdC:sgprSrdC+3], 0, offen offset:0,  sc0 sc1 // load C for beta calc
_v_add_lshl_u32 v39, v3, v4, 0x1                   // scaleToBpe: accumulate d0 lower and *= bpe into Cin addr
v_cndmask_b32 v39, -1, v39, s[58:59]               // LDD clip if OOB. offset
/* (d1,vc1,d0,vc0)=(0,1,5,0) */
s_mov_b32 s54, 160                                 // coordOffset0 d0=5 vc0=0
	;; [unrolled: 11-line block ×3, first 2 shown]
_v_add_co_u32 v4, vcc, v0, s54                     // coord0.2: coord0 += d0*sg0*VW + vc0
v_cmp_lt_u32 s[54:55], v4, s[sgprSizeI]            // coord0 < size0
v_cmp_lt_u32 s[58:59], v1, s[sgprSizeJ]            // coord1 < size1
s_and_b64 s[58:59], s[54:55], s[58:59]             // in0 && in1
_v_add_lshl_u32 v45, v2, v4, 0x1                   // scaleToBpe: accumulate d0 lower and *= bpe into Cin addr
v_cndmask_b32 v45, -1, v45, s[58:59]               // LDC clip if OOB. offset
_buffer_load_d16_b16 v46, v45, s[sgprSrdC:sgprSrdC+3], 0, offen offset:0,  sc0 sc1 // load C for beta calc
_v_add_lshl_u32 v45, v3, v4, 0x1                   // scaleToBpe: accumulate d0 lower and *= bpe into Cin addr
v_cndmask_b32 v45, -1, v45, s[58:59]               // LDD clip if OOB. offset
/* (d1,vc1,d0,vc0)=(0,2,0,0) */
_v_add_co_u32 v1, vcc, v1, 1                       // coord1.1: coord1Vgpr += d1*sg1*VW + vc1

/* Fix for UseInitialStridesCD, emitAddressSetupCode */
_v_add_u32 v2, v2, s[sgprStrideC1J]                // ROWINC- Move cinRowPtr to next row
_v_add_u32 v3, v3, s[sgprStrideD1J]                // Move coutRowPtr to next row
v_cmp_lt_u32 s[54:55], v0, s[sgprSizeI]            // coord0 < size0
v_cmp_lt_u32 s[58:59], v1, s[sgprSizeJ]            // coord1 < size1
s_and_b64 s[58:59], s[54:55], s[58:59]             // in0 && in1
_v_add_lshl_u32 v48, v2, v0, 0x1                   // scaleToBpe: accumulate d0 lower and *= bpe into Cin addr
v_cndmask_b32 v48, -1, v48, s[58:59]               // LDC clip if OOB. offset
_buffer_load_d16_b16 v49, v48, s[sgprSrdC:sgprSrdC+3], 0, offen offset:0,  sc0 sc1 // load C for beta calc
_v_add_lshl_u32 v48, v3, v0, 0x1                   // scaleToBpe: accumulate d0 lower and *= bpe into Cin addr
v_cndmask_b32 v48, -1, v48, s[58:59]               // LDD clip if OOB. offset
/* (d1,vc1,d0,vc0)=(0,2,1,0) */
_v_add_co_u32 v4, vcc, v0, 32                      // coord0.1: coord0 += d0*sg0*VW + vc0
v_cmp_lt_u32 s[54:55], v4, s[sgprSizeI]            // coord0 < size0
v_cmp_lt_u32 s[58:59], v1, s[sgprSizeJ]            // coord1 < size1
s_and_b64 s[58:59], s[54:55], s[58:59]             // in0 && in1
_v_add_lshl_u32 v51, v2, v4, 0x1                   // scaleToBpe: accumulate d0 lower and *= bpe into Cin addr
v_cndmask_b32 v51, -1, v51, s[58:59]               // LDC clip if OOB. offset
_buffer_load_d16_b16 v52, v51, s[sgprSrdC:sgprSrdC+3], 0, offen offset:0,  sc0 sc1 // load C for beta calc
_v_add_lshl_u32 v51, v3, v4, 0x1                   // scaleToBpe: accumulate d0 lower and *= bpe into Cin addr
v_cndmask_b32 v51, -1, v51, s[58:59]               // LDD clip if OOB. offset
/* (d1,vc1,d0,vc0)=(0,2,2,0) */
_v_add_co_u32 v4, vcc, v0, 64                      // coord0.1: coord0 += d0*sg0*VW + vc0
v_cmp_lt_u32 s[54:55], v4, s[sgprSizeI]            // coord0 < size0
v_cmp_lt_u32 s[58:59], v1, s[sgprSizeJ]            // coord1 < size1
s_and_b64 s[58:59], s[54:55], s[58:59]             // in0 && in1
_v_add_lshl_u32 v54, v2, v4, 0x1                   // scaleToBpe: accumulate d0 lower and *= bpe into Cin addr
v_cndmask_b32 v54, -1, v54, s[58:59]               // LDC clip if OOB. offset
_buffer_load_d16_b16 v55, v54, s[sgprSrdC:sgprSrdC+3], 0, offen offset:0,  sc0 sc1 // load C for beta calc
_v_add_lshl_u32 v54, v3, v4, 0x1                   // scaleToBpe: accumulate d0 lower and *= bpe into Cin addr
v_cndmask_b32 v54, -1, v54, s[58:59]               // LDD clip if OOB. offset
/* (d1,vc1,d0,vc0)=(0,2,3,0) */
s_mov_b32 s54, 96                                  // coordOffset0 d0=3 vc0=0
_v_add_co_u32 v4, vcc, v0, s54                     // coord0.2: coord0 += d0*sg0*VW + vc0
v_cmp_lt_u32 s[54:55], v4, s[sgprSizeI]            // coord0 < size0
v_cmp_lt_u32 s[58:59], v1, s[sgprSizeJ]            // coord1 < size1
s_and_b64 s[58:59], s[54:55], s[58:59]             // in0 && in1
_v_add_lshl_u32 v57, v2, v4, 0x1                   // scaleToBpe: accumulate d0 lower and *= bpe into Cin addr
v_cndmask_b32 v57, -1, v57, s[58:59]               // LDC clip if OOB. offset
_buffer_load_d16_b16 v58, v57, s[sgprSrdC:sgprSrdC+3], 0, offen offset:0,  sc0 sc1 // load C for beta calc
_v_add_lshl_u32 v57, v3, v4, 0x1                   // scaleToBpe: accumulate d0 lower and *= bpe into Cin addr
v_cndmask_b32 v57, -1, v57, s[58:59]               // LDD clip if OOB. offset
/* (d1,vc1,d0,vc0)=(0,2,4,0) */
s_mov_b32 s54, 128                                 // coordOffset0 d0=4 vc0=0
_v_add_co_u32 v4, vcc, v0, s54                     // coord0.2: coord0 += d0*sg0*VW + vc0
v_cmp_lt_u32 s[54:55], v4, s[sgprSizeI]            // coord0 < size0
v_cmp_lt_u32 s[58:59], v1, s[sgprSizeJ]            // coord1 < size1
s_and_b64 s[58:59], s[54:55], s[58:59]             // in0 && in1
_v_add_lshl_u32 v60, v2, v4, 0x1                   // scaleToBpe: accumulate d0 lower and *= bpe into Cin addr
v_cndmask_b32 v60, -1, v60, s[58:59]               // LDC clip if OOB. offset
_buffer_load_d16_b16 v61, v60, s[sgprSrdC:sgprSrdC+3], 0, offen offset:0,  sc0 sc1 // load C for beta calc
_v_add_lshl_u32 v60, v3, v4, 0x1                   // scaleToBpe: accumulate d0 lower and *= bpe into Cin addr
v_cndmask_b32 v60, -1, v60, s[58:59]               // LDD clip if OOB. offset
/* (d1,vc1,d0,vc0)=(0,2,5,0) */
s_mov_b32 s54, 160                                 // coordOffset0 d0=5 vc0=0
_v_add_co_u32 v4, vcc, v0, s54                     // coord0.2: coord0 += d0*sg0*VW + vc0
v_cmp_lt_u32 s[54:55], v4, s[sgprSizeI]            // coord0 < size0
v_cmp_lt_u32 s[58:59], v1, s[sgprSizeJ]            // coord1 < size1
s_and_b64 s[58:59], s[54:55], s[58:59]             // in0 && in1
_v_add_lshl_u32 v63, v2, v4, 0x1                   // scaleToBpe: accumulate d0 lower and *= bpe into Cin addr
v_cndmask_b32 v63, -1, v63, s[58:59]               // LDC clip if OOB. offset
_buffer_load_d16_b16 v64, v63, s[sgprSrdC:sgprSrdC+3], 0, offen offset:0,  sc0 sc1 // load C for beta calc
_v_add_lshl_u32 v63, v3, v4, 0x1                   // scaleToBpe: accumulate d0 lower and *= bpe into Cin addr
v_cndmask_b32 v63, -1, v63, s[58:59]               // LDD clip if OOB. offset
/* (d1,vc1,d0,vc0)=(0,2,6,0) */
s_mov_b32 s54, 192                                 // coordOffset0 d0=6 vc0=0
_v_add_co_u32 v4, vcc, v0, s54                     // coord0.2: coord0 += d0*sg0*VW + vc0
v_cmp_lt_u32 s[54:55], v4, s[sgprSizeI]            // coord0 < size0
v_cmp_lt_u32 s[58:59], v1, s[sgprSizeJ]            // coord1 < size1
s_and_b64 s[58:59], s[54:55], s[58:59]             // in0 && in1
_v_add_lshl_u32 v66, v2, v4, 0x1                   // scaleToBpe: accumulate d0 lower and *= bpe into Cin addr
v_cndmask_b32 v66, -1, v66, s[58:59]               // LDC clip if OOB. offset
_buffer_load_d16_b16 v67, v66, s[sgprSrdC:sgprSrdC+3], 0, offen offset:0,  sc0 sc1 // load C for beta calc
_v_add_lshl_u32 v66, v3, v4, 0x1                   // scaleToBpe: accumulate d0 lower and *= bpe into Cin addr
v_cndmask_b32 v66, -1, v66, s[58:59]               // LDD clip if OOB. offset
/* (d1,vc1,d0,vc0)=(0,3,0,0) */
_v_add_co_u32 v1, vcc, v1, 1                       // coord1.1: coord1Vgpr += d1*sg1*VW + vc1

/* Fix for UseInitialStridesCD, emitAddressSetupCode */
_v_add_u32 v2, v2, s[sgprStrideC1J]                // ROWINC- Move cinRowPtr to next row
_v_add_u32 v3, v3, s[sgprStrideD1J]                // Move coutRowPtr to next row
v_cmp_lt_u32 s[54:55], v0, s[sgprSizeI]            // coord0 < size0
v_cmp_lt_u32 s[58:59], v1, s[sgprSizeJ]            // coord1 < size1
s_and_b64 s[58:59], s[54:55], s[58:59]             // in0 && in1
_v_add_lshl_u32 v69, v2, v0, 0x1                   // scaleToBpe: accumulate d0 lower and *= bpe into Cin addr
v_cndmask_b32 v69, -1, v69, s[58:59]               // LDC clip if OOB. offset
_buffer_load_d16_b16 v70, v69, s[sgprSrdC:sgprSrdC+3], 0, offen offset:0,  sc0 sc1 // load C for beta calc
_v_add_lshl_u32 v69, v3, v0, 0x1                   // scaleToBpe: accumulate d0 lower and *= bpe into Cin addr
v_cndmask_b32 v69, -1, v69, s[58:59]               // LDD clip if OOB. offset
/* (d1,vc1,d0,vc0)=(0,3,1,0) */
_v_add_co_u32 v4, vcc, v0, 32                      // coord0.1: coord0 += d0*sg0*VW + vc0
v_cmp_lt_u32 s[54:55], v4, s[sgprSizeI]            // coord0 < size0
v_cmp_lt_u32 s[58:59], v1, s[sgprSizeJ]            // coord1 < size1
s_and_b64 s[58:59], s[54:55], s[58:59]             // in0 && in1
_v_add_lshl_u32 v72, v2, v4, 0x1                   // scaleToBpe: accumulate d0 lower and *= bpe into Cin addr
v_cndmask_b32 v72, -1, v72, s[58:59]               // LDC clip if OOB. offset
_buffer_load_d16_b16 v73, v72, s[sgprSrdC:sgprSrdC+3], 0, offen offset:0,  sc0 sc1 // load C for beta calc
_v_add_lshl_u32 v72, v3, v4, 0x1                   // scaleToBpe: accumulate d0 lower and *= bpe into Cin addr
v_cndmask_b32 v72, -1, v72, s[58:59]               // LDD clip if OOB. offset
/* (d1,vc1,d0,vc0)=(0,3,2,0) */
_v_add_co_u32 v4, vcc, v0, 64                      // coord0.1: coord0 += d0*sg0*VW + vc0
v_cmp_lt_u32 s[54:55], v4, s[sgprSizeI]            // coord0 < size0
v_cmp_lt_u32 s[58:59], v1, s[sgprSizeJ]            // coord1 < size1
s_and_b64 s[58:59], s[54:55], s[58:59]             // in0 && in1
_v_add_lshl_u32 v75, v2, v4, 0x1                   // scaleToBpe: accumulate d0 lower and *= bpe into Cin addr
v_cndmask_b32 v75, -1, v75, s[58:59]               // LDC clip if OOB. offset
_buffer_load_d16_b16 v76, v75, s[sgprSrdC:sgprSrdC+3], 0, offen offset:0,  sc0 sc1 // load C for beta calc
_v_add_lshl_u32 v75, v3, v4, 0x1                   // scaleToBpe: accumulate d0 lower and *= bpe into Cin addr
v_cndmask_b32 v75, -1, v75, s[58:59]               // LDD clip if OOB. offset
/* (d1,vc1,d0,vc0)=(0,3,3,0) */
s_mov_b32 s54, 96                                  // coordOffset0 d0=3 vc0=0
_v_add_co_u32 v4, vcc, v0, s54                     // coord0.2: coord0 += d0*sg0*VW + vc0
v_cmp_lt_u32 s[54:55], v4, s[sgprSizeI]            // coord0 < size0
v_cmp_lt_u32 s[58:59], v1, s[sgprSizeJ]            // coord1 < size1
s_and_b64 s[58:59], s[54:55], s[58:59]             // in0 && in1
_v_add_lshl_u32 v78, v2, v4, 0x1                   // scaleToBpe: accumulate d0 lower and *= bpe into Cin addr
v_cndmask_b32 v78, -1, v78, s[58:59]               // LDC clip if OOB. offset
_buffer_load_d16_b16 v79, v78, s[sgprSrdC:sgprSrdC+3], 0, offen offset:0,  sc0 sc1 // load C for beta calc
_v_add_lshl_u32 v78, v3, v4, 0x1                   // scaleToBpe: accumulate d0 lower and *= bpe into Cin addr
v_cndmask_b32 v78, -1, v78, s[58:59]               // LDD clip if OOB. offset
/* (d1,vc1,d0,vc0)=(0,3,4,0) */
s_mov_b32 s54, 128                                 // coordOffset0 d0=4 vc0=0
_v_add_co_u32 v4, vcc, v0, s54                     // coord0.2: coord0 += d0*sg0*VW + vc0
v_cmp_lt_u32 s[54:55], v4, s[sgprSizeI]            // coord0 < size0
v_cmp_lt_u32 s[58:59], v1, s[sgprSizeJ]            // coord1 < size1
s_and_b64 s[58:59], s[54:55], s[58:59]             // in0 && in1
_v_add_lshl_u32 v81, v2, v4, 0x1                   // scaleToBpe: accumulate d0 lower and *= bpe into Cin addr
v_cndmask_b32 v81, -1, v81, s[58:59]               // LDC clip if OOB. offset
_buffer_load_d16_b16 v82, v81, s[sgprSrdC:sgprSrdC+3], 0, offen offset:0,  sc0 sc1 // load C for beta calc
_v_add_lshl_u32 v81, v3, v4, 0x1                   // scaleToBpe: accumulate d0 lower and *= bpe into Cin addr
v_cndmask_b32 v81, -1, v81, s[58:59]               // LDD clip if OOB. offset
/* (d1,vc1,d0,vc0)=(0,3,5,0) */
s_mov_b32 s54, 160                                 // coordOffset0 d0=5 vc0=0
	;; [unrolled: 11-line block ×3, first 2 shown]
_v_add_co_u32 v4, vcc, v0, s54                     // coord0.2: coord0 += d0*sg0*VW + vc0
v_cmp_lt_u32 s[54:55], v4, s[sgprSizeI]            // coord0 < size0
v_cmp_lt_u32 s[58:59], v1, s[sgprSizeJ]            // coord1 < size1
s_and_b64 s[58:59], s[54:55], s[58:59]             // in0 && in1
_v_add_lshl_u32 v87, v2, v4, 0x1                   // scaleToBpe: accumulate d0 lower and *= bpe into Cin addr
v_cndmask_b32 v87, -1, v87, s[58:59]               // LDC clip if OOB. offset
_buffer_load_d16_b16 v88, v87, s[sgprSrdC:sgprSrdC+3], 0, offen offset:0,  sc0 sc1 // load C for beta calc
_v_add_lshl_u32 v87, v3, v4, 0x1                   // scaleToBpe: accumulate d0 lower and *= bpe into Cin addr
v_cndmask_b32 v87, -1, v87, s[58:59]               // LDD clip if OOB. offset
/* (d1,vc1,d0,vc0)=(1,0,0,0) */
_v_add_co_u32 v1, vcc, v1, 29                      // coord1.1: coord1Vgpr += d1*sg1*VW + vc1

/* Fix for UseInitialStridesCD, emitAddressSetupCode */
s_mul_i32 s54, s[sgprStrideC1J], 29                // scale stride
_v_add_u32 v2, v2, s54                             // ROWINC- Move cinRowPtr to next row
s_mul_i32 s54, s[sgprStrideD1J], 29                // scale stride
_v_add_u32 v3, v3, s54                             // Move coutRowPtr to next row
v_cmp_lt_u32 s[54:55], v0, s[sgprSizeI]            // coord0 < size0
v_cmp_lt_u32 s[58:59], v1, s[sgprSizeJ]            // coord1 < size1
s_and_b64 s[58:59], s[54:55], s[58:59]             // in0 && in1
_v_add_lshl_u32 v90, v2, v0, 0x1                   // scaleToBpe: accumulate d0 lower and *= bpe into Cin addr
v_cndmask_b32 v90, -1, v90, s[58:59]               // LDC clip if OOB. offset
_buffer_load_d16_b16 v91, v90, s[sgprSrdC:sgprSrdC+3], 0, offen offset:0,  sc0 sc1 // load C for beta calc
_v_add_lshl_u32 v90, v3, v0, 0x1                   // scaleToBpe: accumulate d0 lower and *= bpe into Cin addr
v_cndmask_b32 v90, -1, v90, s[58:59]               // LDD clip if OOB. offset
/* (d1,vc1,d0,vc0)=(1,0,1,0) */
_v_add_co_u32 v4, vcc, v0, 32                      // coord0.1: coord0 += d0*sg0*VW + vc0
v_cmp_lt_u32 s[54:55], v4, s[sgprSizeI]            // coord0 < size0
v_cmp_lt_u32 s[58:59], v1, s[sgprSizeJ]            // coord1 < size1
s_and_b64 s[58:59], s[54:55], s[58:59]             // in0 && in1
_v_add_lshl_u32 v93, v2, v4, 0x1                   // scaleToBpe: accumulate d0 lower and *= bpe into Cin addr
v_cndmask_b32 v93, -1, v93, s[58:59]               // LDC clip if OOB. offset
_buffer_load_d16_b16 v94, v93, s[sgprSrdC:sgprSrdC+3], 0, offen offset:0,  sc0 sc1 // load C for beta calc
_v_add_lshl_u32 v93, v3, v4, 0x1                   // scaleToBpe: accumulate d0 lower and *= bpe into Cin addr
v_cndmask_b32 v93, -1, v93, s[58:59]               // LDD clip if OOB. offset
/* (d1,vc1,d0,vc0)=(1,0,2,0) */
_v_add_co_u32 v4, vcc, v0, 64                      // coord0.1: coord0 += d0*sg0*VW + vc0
v_cmp_lt_u32 s[54:55], v4, s[sgprSizeI]            // coord0 < size0
v_cmp_lt_u32 s[58:59], v1, s[sgprSizeJ]            // coord1 < size1
s_and_b64 s[58:59], s[54:55], s[58:59]             // in0 && in1
_v_add_lshl_u32 v96, v2, v4, 0x1                   // scaleToBpe: accumulate d0 lower and *= bpe into Cin addr
v_cndmask_b32 v96, -1, v96, s[58:59]               // LDC clip if OOB. offset
_buffer_load_d16_b16 v97, v96, s[sgprSrdC:sgprSrdC+3], 0, offen offset:0,  sc0 sc1 // load C for beta calc
_v_add_lshl_u32 v96, v3, v4, 0x1                   // scaleToBpe: accumulate d0 lower and *= bpe into Cin addr
v_cndmask_b32 v96, -1, v96, s[58:59]               // LDD clip if OOB. offset
/* (d1,vc1,d0,vc0)=(1,0,3,0) */
s_mov_b32 s54, 96                                  // coordOffset0 d0=3 vc0=0
_v_add_co_u32 v4, vcc, v0, s54                     // coord0.2: coord0 += d0*sg0*VW + vc0
v_cmp_lt_u32 s[54:55], v4, s[sgprSizeI]            // coord0 < size0
v_cmp_lt_u32 s[58:59], v1, s[sgprSizeJ]            // coord1 < size1
s_and_b64 s[58:59], s[54:55], s[58:59]             // in0 && in1
_v_add_lshl_u32 v99, v2, v4, 0x1                   // scaleToBpe: accumulate d0 lower and *= bpe into Cin addr
v_cndmask_b32 v99, -1, v99, s[58:59]               // LDC clip if OOB. offset
_buffer_load_d16_b16 v100, v99, s[sgprSrdC:sgprSrdC+3], 0, offen offset:0,  sc0 sc1 // load C for beta calc
_v_add_lshl_u32 v99, v3, v4, 0x1                   // scaleToBpe: accumulate d0 lower and *= bpe into Cin addr
v_cndmask_b32 v99, -1, v99, s[58:59]               // LDD clip if OOB. offset
/* (d1,vc1,d0,vc0)=(1,0,4,0) */
s_mov_b32 s54, 128                                 // coordOffset0 d0=4 vc0=0
_v_add_co_u32 v4, vcc, v0, s54                     // coord0.2: coord0 += d0*sg0*VW + vc0
v_cmp_lt_u32 s[54:55], v4, s[sgprSizeI]            // coord0 < size0
v_cmp_lt_u32 s[58:59], v1, s[sgprSizeJ]            // coord1 < size1
s_and_b64 s[58:59], s[54:55], s[58:59]             // in0 && in1
_v_add_lshl_u32 v102, v2, v4, 0x1                  // scaleToBpe: accumulate d0 lower and *= bpe into Cin addr
v_cndmask_b32 v102, -1, v102, s[58:59]             // LDC clip if OOB. offset
_buffer_load_d16_b16 v103, v102, s[sgprSrdC:sgprSrdC+3], 0, offen offset:0,  sc0 sc1 // load C for beta calc
_v_add_lshl_u32 v102, v3, v4, 0x1                  // scaleToBpe: accumulate d0 lower and *= bpe into Cin addr
v_cndmask_b32 v102, -1, v102, s[58:59]             // LDD clip if OOB. offset
/* (d1,vc1,d0,vc0)=(1,0,5,0) */
s_mov_b32 s54, 160                                 // coordOffset0 d0=5 vc0=0
_v_add_co_u32 v4, vcc, v0, s54                     // coord0.2: coord0 += d0*sg0*VW + vc0
v_cmp_lt_u32 s[54:55], v4, s[sgprSizeI]            // coord0 < size0
v_cmp_lt_u32 s[58:59], v1, s[sgprSizeJ]            // coord1 < size1
s_and_b64 s[58:59], s[54:55], s[58:59]             // in0 && in1
_v_add_lshl_u32 v105, v2, v4, 0x1                  // scaleToBpe: accumulate d0 lower and *= bpe into Cin addr
v_cndmask_b32 v105, -1, v105, s[58:59]             // LDC clip if OOB. offset
_buffer_load_d16_b16 v106, v105, s[sgprSrdC:sgprSrdC+3], 0, offen offset:0,  sc0 sc1 // load C for beta calc
_v_add_lshl_u32 v105, v3, v4, 0x1                  // scaleToBpe: accumulate d0 lower and *= bpe into Cin addr
v_cndmask_b32 v105, -1, v105, s[58:59]             // LDD clip if OOB. offset
	;; [unrolled: 11-line block ×3, first 2 shown]
/* (d1,vc1,d0,vc0)=(1,1,0,0) */
_v_add_co_u32 v1, vcc, v1, 1                       // coord1.1: coord1Vgpr += d1*sg1*VW + vc1

/* Fix for UseInitialStridesCD, emitAddressSetupCode */
_v_add_u32 v2, v2, s[sgprStrideC1J]                // ROWINC- Move cinRowPtr to next row
_v_add_u32 v3, v3, s[sgprStrideD1J]                // Move coutRowPtr to next row
v_cmp_lt_u32 s[54:55], v0, s[sgprSizeI]            // coord0 < size0
v_cmp_lt_u32 s[58:59], v1, s[sgprSizeJ]            // coord1 < size1
s_and_b64 s[58:59], s[54:55], s[58:59]             // in0 && in1
_v_add_lshl_u32 v111, v2, v0, 0x1                  // scaleToBpe: accumulate d0 lower and *= bpe into Cin addr
v_cndmask_b32 v111, -1, v111, s[58:59]             // LDC clip if OOB. offset
_buffer_load_d16_b16 v112, v111, s[sgprSrdC:sgprSrdC+3], 0, offen offset:0,  sc0 sc1 // load C for beta calc
_v_add_lshl_u32 v111, v3, v0, 0x1                  // scaleToBpe: accumulate d0 lower and *= bpe into Cin addr
v_cndmask_b32 v111, -1, v111, s[58:59]             // LDD clip if OOB. offset
/* (d1,vc1,d0,vc0)=(1,1,1,0) */
_v_add_co_u32 v4, vcc, v0, 32                      // coord0.1: coord0 += d0*sg0*VW + vc0
v_cmp_lt_u32 s[54:55], v4, s[sgprSizeI]            // coord0 < size0
v_cmp_lt_u32 s[58:59], v1, s[sgprSizeJ]            // coord1 < size1
s_and_b64 s[58:59], s[54:55], s[58:59]             // in0 && in1
_v_add_lshl_u32 v114, v2, v4, 0x1                  // scaleToBpe: accumulate d0 lower and *= bpe into Cin addr
v_cndmask_b32 v114, -1, v114, s[58:59]             // LDC clip if OOB. offset
_buffer_load_d16_b16 v115, v114, s[sgprSrdC:sgprSrdC+3], 0, offen offset:0,  sc0 sc1 // load C for beta calc
_v_add_lshl_u32 v114, v3, v4, 0x1                  // scaleToBpe: accumulate d0 lower and *= bpe into Cin addr
v_cndmask_b32 v114, -1, v114, s[58:59]             // LDD clip if OOB. offset
/* (d1,vc1,d0,vc0)=(1,1,2,0) */
_v_add_co_u32 v4, vcc, v0, 64                      // coord0.1: coord0 += d0*sg0*VW + vc0
v_cmp_lt_u32 s[54:55], v4, s[sgprSizeI]            // coord0 < size0
v_cmp_lt_u32 s[58:59], v1, s[sgprSizeJ]            // coord1 < size1
s_and_b64 s[58:59], s[54:55], s[58:59]             // in0 && in1
_v_add_lshl_u32 v117, v2, v4, 0x1                  // scaleToBpe: accumulate d0 lower and *= bpe into Cin addr
v_cndmask_b32 v117, -1, v117, s[58:59]             // LDC clip if OOB. offset
_buffer_load_d16_b16 v118, v117, s[sgprSrdC:sgprSrdC+3], 0, offen offset:0,  sc0 sc1 // load C for beta calc
_v_add_lshl_u32 v117, v3, v4, 0x1                  // scaleToBpe: accumulate d0 lower and *= bpe into Cin addr
v_cndmask_b32 v117, -1, v117, s[58:59]             // LDD clip if OOB. offset
/* (d1,vc1,d0,vc0)=(1,1,3,0) */
s_mov_b32 s54, 96                                  // coordOffset0 d0=3 vc0=0
_v_add_co_u32 v4, vcc, v0, s54                     // coord0.2: coord0 += d0*sg0*VW + vc0
v_cmp_lt_u32 s[54:55], v4, s[sgprSizeI]            // coord0 < size0
v_cmp_lt_u32 s[58:59], v1, s[sgprSizeJ]            // coord1 < size1
s_and_b64 s[58:59], s[54:55], s[58:59]             // in0 && in1
_v_add_lshl_u32 v120, v2, v4, 0x1                  // scaleToBpe: accumulate d0 lower and *= bpe into Cin addr
v_cndmask_b32 v120, -1, v120, s[58:59]             // LDC clip if OOB. offset
_buffer_load_d16_b16 v121, v120, s[sgprSrdC:sgprSrdC+3], 0, offen offset:0,  sc0 sc1 // load C for beta calc
_v_add_lshl_u32 v120, v3, v4, 0x1                  // scaleToBpe: accumulate d0 lower and *= bpe into Cin addr
v_cndmask_b32 v120, -1, v120, s[58:59]             // LDD clip if OOB. offset
/* (d1,vc1,d0,vc0)=(1,1,4,0) */
s_mov_b32 s54, 128                                 // coordOffset0 d0=4 vc0=0
_v_add_co_u32 v4, vcc, v0, s54                     // coord0.2: coord0 += d0*sg0*VW + vc0
v_cmp_lt_u32 s[54:55], v4, s[sgprSizeI]            // coord0 < size0
v_cmp_lt_u32 s[58:59], v1, s[sgprSizeJ]            // coord1 < size1
s_and_b64 s[58:59], s[54:55], s[58:59]             // in0 && in1
_v_add_lshl_u32 v123, v2, v4, 0x1                  // scaleToBpe: accumulate d0 lower and *= bpe into Cin addr
v_cndmask_b32 v123, -1, v123, s[58:59]             // LDC clip if OOB. offset
_buffer_load_d16_b16 v124, v123, s[sgprSrdC:sgprSrdC+3], 0, offen offset:0,  sc0 sc1 // load C for beta calc
_v_add_lshl_u32 v123, v3, v4, 0x1                  // scaleToBpe: accumulate d0 lower and *= bpe into Cin addr
v_cndmask_b32 v123, -1, v123, s[58:59]             // LDD clip if OOB. offset
/* (d1,vc1,d0,vc0)=(1,1,5,0) */
s_mov_b32 s54, 160                                 // coordOffset0 d0=5 vc0=0
	;; [unrolled: 11-line block ×3, first 2 shown]
_v_add_co_u32 v4, vcc, v0, s54                     // coord0.2: coord0 += d0*sg0*VW + vc0
v_cmp_lt_u32 s[54:55], v4, s[sgprSizeI]            // coord0 < size0
v_cmp_lt_u32 s[58:59], v1, s[sgprSizeJ]            // coord1 < size1
s_and_b64 s[58:59], s[54:55], s[58:59]             // in0 && in1
_v_add_lshl_u32 v129, v2, v4, 0x1                  // scaleToBpe: accumulate d0 lower and *= bpe into Cin addr
v_cndmask_b32 v129, -1, v129, s[58:59]             // LDC clip if OOB. offset
_buffer_load_d16_b16 v130, v129, s[sgprSrdC:sgprSrdC+3], 0, offen offset:0,  sc0 sc1 // load C for beta calc
_v_add_lshl_u32 v129, v3, v4, 0x1                  // scaleToBpe: accumulate d0 lower and *= bpe into Cin addr
v_cndmask_b32 v129, -1, v129, s[58:59]             // LDD clip if OOB. offset
/* (d1,vc1,d0,vc0)=(1,2,0,0) */
_v_add_co_u32 v1, vcc, v1, 1                       // coord1.1: coord1Vgpr += d1*sg1*VW + vc1

/* Fix for UseInitialStridesCD, emitAddressSetupCode */
_v_add_u32 v2, v2, s[sgprStrideC1J]                // ROWINC- Move cinRowPtr to next row
_v_add_u32 v3, v3, s[sgprStrideD1J]                // Move coutRowPtr to next row
v_cmp_lt_u32 s[54:55], v0, s[sgprSizeI]            // coord0 < size0
v_cmp_lt_u32 s[58:59], v1, s[sgprSizeJ]            // coord1 < size1
s_and_b64 s[58:59], s[54:55], s[58:59]             // in0 && in1
_v_add_lshl_u32 v132, v2, v0, 0x1                  // scaleToBpe: accumulate d0 lower and *= bpe into Cin addr
v_cndmask_b32 v132, -1, v132, s[58:59]             // LDC clip if OOB. offset
_buffer_load_d16_b16 v133, v132, s[sgprSrdC:sgprSrdC+3], 0, offen offset:0,  sc0 sc1 // load C for beta calc
_v_add_lshl_u32 v132, v3, v0, 0x1                  // scaleToBpe: accumulate d0 lower and *= bpe into Cin addr
v_cndmask_b32 v132, -1, v132, s[58:59]             // LDD clip if OOB. offset
/* (d1,vc1,d0,vc0)=(1,2,1,0) */
_v_add_co_u32 v4, vcc, v0, 32                      // coord0.1: coord0 += d0*sg0*VW + vc0
v_cmp_lt_u32 s[54:55], v4, s[sgprSizeI]            // coord0 < size0
v_cmp_lt_u32 s[58:59], v1, s[sgprSizeJ]            // coord1 < size1
s_and_b64 s[58:59], s[54:55], s[58:59]             // in0 && in1
_v_add_lshl_u32 v135, v2, v4, 0x1                  // scaleToBpe: accumulate d0 lower and *= bpe into Cin addr
v_cndmask_b32 v135, -1, v135, s[58:59]             // LDC clip if OOB. offset
_buffer_load_d16_b16 v136, v135, s[sgprSrdC:sgprSrdC+3], 0, offen offset:0,  sc0 sc1 // load C for beta calc
_v_add_lshl_u32 v135, v3, v4, 0x1                  // scaleToBpe: accumulate d0 lower and *= bpe into Cin addr
v_cndmask_b32 v135, -1, v135, s[58:59]             // LDD clip if OOB. offset
/* (d1,vc1,d0,vc0)=(1,2,2,0) */
_v_add_co_u32 v4, vcc, v0, 64                      // coord0.1: coord0 += d0*sg0*VW + vc0
v_cmp_lt_u32 s[54:55], v4, s[sgprSizeI]            // coord0 < size0
v_cmp_lt_u32 s[58:59], v1, s[sgprSizeJ]            // coord1 < size1
s_and_b64 s[58:59], s[54:55], s[58:59]             // in0 && in1
_v_add_lshl_u32 v138, v2, v4, 0x1                  // scaleToBpe: accumulate d0 lower and *= bpe into Cin addr
v_cndmask_b32 v138, -1, v138, s[58:59]             // LDC clip if OOB. offset
_buffer_load_d16_b16 v139, v138, s[sgprSrdC:sgprSrdC+3], 0, offen offset:0,  sc0 sc1 // load C for beta calc
_v_add_lshl_u32 v138, v3, v4, 0x1                  // scaleToBpe: accumulate d0 lower and *= bpe into Cin addr
v_cndmask_b32 v138, -1, v138, s[58:59]             // LDD clip if OOB. offset
/* (d1,vc1,d0,vc0)=(1,2,3,0) */
s_mov_b32 s54, 96                                  // coordOffset0 d0=3 vc0=0
_v_add_co_u32 v4, vcc, v0, s54                     // coord0.2: coord0 += d0*sg0*VW + vc0
v_cmp_lt_u32 s[54:55], v4, s[sgprSizeI]            // coord0 < size0
v_cmp_lt_u32 s[58:59], v1, s[sgprSizeJ]            // coord1 < size1
s_and_b64 s[58:59], s[54:55], s[58:59]             // in0 && in1
_v_add_lshl_u32 v141, v2, v4, 0x1                  // scaleToBpe: accumulate d0 lower and *= bpe into Cin addr
v_cndmask_b32 v141, -1, v141, s[58:59]             // LDC clip if OOB. offset
_buffer_load_d16_b16 v142, v141, s[sgprSrdC:sgprSrdC+3], 0, offen offset:0,  sc0 sc1 // load C for beta calc
_v_add_lshl_u32 v141, v3, v4, 0x1                  // scaleToBpe: accumulate d0 lower and *= bpe into Cin addr
v_cndmask_b32 v141, -1, v141, s[58:59]             // LDD clip if OOB. offset
/* (d1,vc1,d0,vc0)=(1,2,4,0) */
s_mov_b32 s54, 128                                 // coordOffset0 d0=4 vc0=0
_v_add_co_u32 v4, vcc, v0, s54                     // coord0.2: coord0 += d0*sg0*VW + vc0
v_cmp_lt_u32 s[54:55], v4, s[sgprSizeI]            // coord0 < size0
v_cmp_lt_u32 s[58:59], v1, s[sgprSizeJ]            // coord1 < size1
s_and_b64 s[58:59], s[54:55], s[58:59]             // in0 && in1
_v_add_lshl_u32 v144, v2, v4, 0x1                  // scaleToBpe: accumulate d0 lower and *= bpe into Cin addr
v_cndmask_b32 v144, -1, v144, s[58:59]             // LDC clip if OOB. offset
_buffer_load_d16_b16 v145, v144, s[sgprSrdC:sgprSrdC+3], 0, offen offset:0,  sc0 sc1 // load C for beta calc
_v_add_lshl_u32 v144, v3, v4, 0x1                  // scaleToBpe: accumulate d0 lower and *= bpe into Cin addr
v_cndmask_b32 v144, -1, v144, s[58:59]             // LDD clip if OOB. offset
/* (d1,vc1,d0,vc0)=(1,2,5,0) */
s_mov_b32 s54, 160                                 // coordOffset0 d0=5 vc0=0
	;; [unrolled: 11-line block ×3, first 2 shown]
_v_add_co_u32 v4, vcc, v0, s54                     // coord0.2: coord0 += d0*sg0*VW + vc0
v_cmp_lt_u32 s[54:55], v4, s[sgprSizeI]            // coord0 < size0
v_cmp_lt_u32 s[58:59], v1, s[sgprSizeJ]            // coord1 < size1
s_and_b64 s[58:59], s[54:55], s[58:59]             // in0 && in1
_v_add_lshl_u32 v150, v2, v4, 0x1                  // scaleToBpe: accumulate d0 lower and *= bpe into Cin addr
v_cndmask_b32 v150, -1, v150, s[58:59]             // LDC clip if OOB. offset
_buffer_load_d16_b16 v151, v150, s[sgprSrdC:sgprSrdC+3], 0, offen offset:0,  sc0 sc1 // load C for beta calc
_v_add_lshl_u32 v150, v3, v4, 0x1                  // scaleToBpe: accumulate d0 lower and *= bpe into Cin addr
v_cndmask_b32 v150, -1, v150, s[58:59]             // LDD clip if OOB. offset
/* (d1,vc1,d0,vc0)=(1,3,0,0) */
_v_add_co_u32 v1, vcc, v1, 1                       // coord1.1: coord1Vgpr += d1*sg1*VW + vc1

/* Fix for UseInitialStridesCD, emitAddressSetupCode */
_v_add_u32 v2, v2, s[sgprStrideC1J]                // ROWINC- Move cinRowPtr to next row
_v_add_u32 v3, v3, s[sgprStrideD1J]                // Move coutRowPtr to next row
v_cmp_lt_u32 s[54:55], v0, s[sgprSizeI]            // coord0 < size0
v_cmp_lt_u32 s[58:59], v1, s[sgprSizeJ]            // coord1 < size1
s_and_b64 s[58:59], s[54:55], s[58:59]             // in0 && in1
_v_add_lshl_u32 v153, v2, v0, 0x1                  // scaleToBpe: accumulate d0 lower and *= bpe into Cin addr
v_cndmask_b32 v153, -1, v153, s[58:59]             // LDC clip if OOB. offset
_buffer_load_d16_b16 v154, v153, s[sgprSrdC:sgprSrdC+3], 0, offen offset:0,  sc0 sc1 // load C for beta calc
_v_add_lshl_u32 v153, v3, v0, 0x1                  // scaleToBpe: accumulate d0 lower and *= bpe into Cin addr
v_cndmask_b32 v153, -1, v153, s[58:59]             // LDD clip if OOB. offset
/* (d1,vc1,d0,vc0)=(1,3,1,0) */
_v_add_co_u32 v4, vcc, v0, 32                      // coord0.1: coord0 += d0*sg0*VW + vc0
v_cmp_lt_u32 s[54:55], v4, s[sgprSizeI]            // coord0 < size0
v_cmp_lt_u32 s[58:59], v1, s[sgprSizeJ]            // coord1 < size1
s_and_b64 s[58:59], s[54:55], s[58:59]             // in0 && in1
_v_add_lshl_u32 v156, v2, v4, 0x1                  // scaleToBpe: accumulate d0 lower and *= bpe into Cin addr
v_cndmask_b32 v156, -1, v156, s[58:59]             // LDC clip if OOB. offset
_buffer_load_d16_b16 v157, v156, s[sgprSrdC:sgprSrdC+3], 0, offen offset:0,  sc0 sc1 // load C for beta calc
_v_add_lshl_u32 v156, v3, v4, 0x1                  // scaleToBpe: accumulate d0 lower and *= bpe into Cin addr
v_cndmask_b32 v156, -1, v156, s[58:59]             // LDD clip if OOB. offset
/* (d1,vc1,d0,vc0)=(1,3,2,0) */
_v_add_co_u32 v4, vcc, v0, 64                      // coord0.1: coord0 += d0*sg0*VW + vc0
v_cmp_lt_u32 s[54:55], v4, s[sgprSizeI]            // coord0 < size0
v_cmp_lt_u32 s[58:59], v1, s[sgprSizeJ]            // coord1 < size1
s_and_b64 s[58:59], s[54:55], s[58:59]             // in0 && in1
_v_add_lshl_u32 v159, v2, v4, 0x1                  // scaleToBpe: accumulate d0 lower and *= bpe into Cin addr
v_cndmask_b32 v159, -1, v159, s[58:59]             // LDC clip if OOB. offset
_buffer_load_d16_b16 v160, v159, s[sgprSrdC:sgprSrdC+3], 0, offen offset:0,  sc0 sc1 // load C for beta calc
_v_add_lshl_u32 v159, v3, v4, 0x1                  // scaleToBpe: accumulate d0 lower and *= bpe into Cin addr
v_cndmask_b32 v159, -1, v159, s[58:59]             // LDD clip if OOB. offset
/* (d1,vc1,d0,vc0)=(1,3,3,0) */
s_mov_b32 s54, 96                                  // coordOffset0 d0=3 vc0=0
_v_add_co_u32 v4, vcc, v0, s54                     // coord0.2: coord0 += d0*sg0*VW + vc0
v_cmp_lt_u32 s[54:55], v4, s[sgprSizeI]            // coord0 < size0
v_cmp_lt_u32 s[58:59], v1, s[sgprSizeJ]            // coord1 < size1
s_and_b64 s[58:59], s[54:55], s[58:59]             // in0 && in1
_v_add_lshl_u32 v162, v2, v4, 0x1                  // scaleToBpe: accumulate d0 lower and *= bpe into Cin addr
v_cndmask_b32 v162, -1, v162, s[58:59]             // LDC clip if OOB. offset
_buffer_load_d16_b16 v163, v162, s[sgprSrdC:sgprSrdC+3], 0, offen offset:0,  sc0 sc1 // load C for beta calc
_v_add_lshl_u32 v162, v3, v4, 0x1                  // scaleToBpe: accumulate d0 lower and *= bpe into Cin addr
v_cndmask_b32 v162, -1, v162, s[58:59]             // LDD clip if OOB. offset
/* (d1,vc1,d0,vc0)=(1,3,4,0) */
s_mov_b32 s54, 128                                 // coordOffset0 d0=4 vc0=0
_v_add_co_u32 v4, vcc, v0, s54                     // coord0.2: coord0 += d0*sg0*VW + vc0
v_cmp_lt_u32 s[54:55], v4, s[sgprSizeI]            // coord0 < size0
v_cmp_lt_u32 s[58:59], v1, s[sgprSizeJ]            // coord1 < size1
s_and_b64 s[58:59], s[54:55], s[58:59]             // in0 && in1
_v_add_lshl_u32 v165, v2, v4, 0x1                  // scaleToBpe: accumulate d0 lower and *= bpe into Cin addr
v_cndmask_b32 v165, -1, v165, s[58:59]             // LDC clip if OOB. offset
_buffer_load_d16_b16 v166, v165, s[sgprSrdC:sgprSrdC+3], 0, offen offset:0,  sc0 sc1 // load C for beta calc
_v_add_lshl_u32 v165, v3, v4, 0x1                  // scaleToBpe: accumulate d0 lower and *= bpe into Cin addr
v_cndmask_b32 v165, -1, v165, s[58:59]             // LDD clip if OOB. offset
/* (d1,vc1,d0,vc0)=(1,3,5,0) */
s_mov_b32 s54, 160                                 // coordOffset0 d0=5 vc0=0
	;; [unrolled: 11-line block ×3, first 2 shown]
_v_add_co_u32 v4, vcc, v0, s54                     // coord0.2: coord0 += d0*sg0*VW + vc0
v_cmp_lt_u32 s[54:55], v4, s[sgprSizeI]            // coord0 < size0
v_cmp_lt_u32 s[58:59], v1, s[sgprSizeJ]            // coord1 < size1
s_and_b64 s[58:59], s[54:55], s[58:59]             // in0 && in1
_v_add_lshl_u32 v171, v2, v4, 0x1                  // scaleToBpe: accumulate d0 lower and *= bpe into Cin addr
v_cndmask_b32 v171, -1, v171, s[58:59]             // LDC clip if OOB. offset
_buffer_load_d16_b16 v172, v171, s[sgprSrdC:sgprSrdC+3], 0, offen offset:0,  sc0 sc1 // load C for beta calc
_v_add_lshl_u32 v171, v3, v4, 0x1                  // scaleToBpe: accumulate d0 lower and *= bpe into Cin addr
v_cndmask_b32 v171, -1, v171, s[58:59]             // LDD clip if OOB. offset
/* (d1,vc1,d0,vc0)=(2,0,0,0) */
_v_add_co_u32 v1, vcc, v1, 29                      // coord1.1: coord1Vgpr += d1*sg1*VW + vc1

/* Fix for UseInitialStridesCD, emitAddressSetupCode */
s_mul_i32 s54, s[sgprStrideC1J], 29                // scale stride
_v_add_u32 v2, v2, s54                             // ROWINC- Move cinRowPtr to next row
s_mul_i32 s54, s[sgprStrideD1J], 29                // scale stride
_v_add_u32 v3, v3, s54                             // Move coutRowPtr to next row
v_cmp_lt_u32 s[54:55], v0, s[sgprSizeI]            // coord0 < size0
v_cmp_lt_u32 s[58:59], v1, s[sgprSizeJ]            // coord1 < size1
s_and_b64 s[58:59], s[54:55], s[58:59]             // in0 && in1
_v_add_lshl_u32 v174, v2, v0, 0x1                  // scaleToBpe: accumulate d0 lower and *= bpe into Cin addr
v_cndmask_b32 v174, -1, v174, s[58:59]             // LDC clip if OOB. offset
_buffer_load_d16_b16 v175, v174, s[sgprSrdC:sgprSrdC+3], 0, offen offset:0,  sc0 sc1 // load C for beta calc
_v_add_lshl_u32 v174, v3, v0, 0x1                  // scaleToBpe: accumulate d0 lower and *= bpe into Cin addr
v_cndmask_b32 v174, -1, v174, s[58:59]             // LDD clip if OOB. offset
/* (d1,vc1,d0,vc0)=(2,0,1,0) */
_v_add_co_u32 v4, vcc, v0, 32                      // coord0.1: coord0 += d0*sg0*VW + vc0
v_cmp_lt_u32 s[54:55], v4, s[sgprSizeI]            // coord0 < size0
v_cmp_lt_u32 s[58:59], v1, s[sgprSizeJ]            // coord1 < size1
s_and_b64 s[58:59], s[54:55], s[58:59]             // in0 && in1
_v_add_lshl_u32 v177, v2, v4, 0x1                  // scaleToBpe: accumulate d0 lower and *= bpe into Cin addr
v_cndmask_b32 v177, -1, v177, s[58:59]             // LDC clip if OOB. offset
_buffer_load_d16_b16 v178, v177, s[sgprSrdC:sgprSrdC+3], 0, offen offset:0,  sc0 sc1 // load C for beta calc
_v_add_lshl_u32 v177, v3, v4, 0x1                  // scaleToBpe: accumulate d0 lower and *= bpe into Cin addr
v_cndmask_b32 v177, -1, v177, s[58:59]             // LDD clip if OOB. offset
/* (d1,vc1,d0,vc0)=(2,0,2,0) */
_v_add_co_u32 v4, vcc, v0, 64                      // coord0.1: coord0 += d0*sg0*VW + vc0
v_cmp_lt_u32 s[54:55], v4, s[sgprSizeI]            // coord0 < size0
v_cmp_lt_u32 s[58:59], v1, s[sgprSizeJ]            // coord1 < size1
s_and_b64 s[58:59], s[54:55], s[58:59]             // in0 && in1
_v_add_lshl_u32 v180, v2, v4, 0x1                  // scaleToBpe: accumulate d0 lower and *= bpe into Cin addr
v_cndmask_b32 v180, -1, v180, s[58:59]             // LDC clip if OOB. offset
_buffer_load_d16_b16 v181, v180, s[sgprSrdC:sgprSrdC+3], 0, offen offset:0,  sc0 sc1 // load C for beta calc
_v_add_lshl_u32 v180, v3, v4, 0x1                  // scaleToBpe: accumulate d0 lower and *= bpe into Cin addr
v_cndmask_b32 v180, -1, v180, s[58:59]             // LDD clip if OOB. offset
/* (d1,vc1,d0,vc0)=(2,0,3,0) */
s_mov_b32 s54, 96                                  // coordOffset0 d0=3 vc0=0
_v_add_co_u32 v4, vcc, v0, s54                     // coord0.2: coord0 += d0*sg0*VW + vc0
v_cmp_lt_u32 s[54:55], v4, s[sgprSizeI]            // coord0 < size0
v_cmp_lt_u32 s[58:59], v1, s[sgprSizeJ]            // coord1 < size1
s_and_b64 s[58:59], s[54:55], s[58:59]             // in0 && in1
_v_add_lshl_u32 v183, v2, v4, 0x1                  // scaleToBpe: accumulate d0 lower and *= bpe into Cin addr
v_cndmask_b32 v183, -1, v183, s[58:59]             // LDC clip if OOB. offset
_buffer_load_d16_b16 v184, v183, s[sgprSrdC:sgprSrdC+3], 0, offen offset:0,  sc0 sc1 // load C for beta calc
_v_add_lshl_u32 v183, v3, v4, 0x1                  // scaleToBpe: accumulate d0 lower and *= bpe into Cin addr
v_cndmask_b32 v183, -1, v183, s[58:59]             // LDD clip if OOB. offset
/* (d1,vc1,d0,vc0)=(2,0,4,0) */
s_mov_b32 s54, 128                                 // coordOffset0 d0=4 vc0=0
_v_add_co_u32 v4, vcc, v0, s54                     // coord0.2: coord0 += d0*sg0*VW + vc0
v_cmp_lt_u32 s[54:55], v4, s[sgprSizeI]            // coord0 < size0
v_cmp_lt_u32 s[58:59], v1, s[sgprSizeJ]            // coord1 < size1
s_and_b64 s[58:59], s[54:55], s[58:59]             // in0 && in1
_v_add_lshl_u32 v186, v2, v4, 0x1                  // scaleToBpe: accumulate d0 lower and *= bpe into Cin addr
v_cndmask_b32 v186, -1, v186, s[58:59]             // LDC clip if OOB. offset
_buffer_load_d16_b16 v187, v186, s[sgprSrdC:sgprSrdC+3], 0, offen offset:0,  sc0 sc1 // load C for beta calc
_v_add_lshl_u32 v186, v3, v4, 0x1                  // scaleToBpe: accumulate d0 lower and *= bpe into Cin addr
v_cndmask_b32 v186, -1, v186, s[58:59]             // LDD clip if OOB. offset
/* (d1,vc1,d0,vc0)=(2,0,5,0) */
s_mov_b32 s54, 160                                 // coordOffset0 d0=5 vc0=0
	;; [unrolled: 11-line block ×3, first 2 shown]
_v_add_co_u32 v4, vcc, v0, s54                     // coord0.2: coord0 += d0*sg0*VW + vc0
v_cmp_lt_u32 s[54:55], v4, s[sgprSizeI]            // coord0 < size0
v_cmp_lt_u32 s[58:59], v1, s[sgprSizeJ]            // coord1 < size1
s_and_b64 s[58:59], s[54:55], s[58:59]             // in0 && in1
_v_add_lshl_u32 v192, v2, v4, 0x1                  // scaleToBpe: accumulate d0 lower and *= bpe into Cin addr
v_cndmask_b32 v192, -1, v192, s[58:59]             // LDC clip if OOB. offset
_buffer_load_d16_b16 v193, v192, s[sgprSrdC:sgprSrdC+3], 0, offen offset:0,  sc0 sc1 // load C for beta calc
_v_add_lshl_u32 v192, v3, v4, 0x1                  // scaleToBpe: accumulate d0 lower and *= bpe into Cin addr
v_cndmask_b32 v192, -1, v192, s[58:59]             // LDD clip if OOB. offset
/* (d1,vc1,d0,vc0)=(2,1,0,0) */
_v_add_co_u32 v1, vcc, v1, 1                       // coord1.1: coord1Vgpr += d1*sg1*VW + vc1

/* Fix for UseInitialStridesCD, emitAddressSetupCode */
_v_add_u32 v2, v2, s[sgprStrideC1J]                // ROWINC- Move cinRowPtr to next row
_v_add_u32 v3, v3, s[sgprStrideD1J]                // Move coutRowPtr to next row
v_cmp_lt_u32 s[54:55], v0, s[sgprSizeI]            // coord0 < size0
v_cmp_lt_u32 s[58:59], v1, s[sgprSizeJ]            // coord1 < size1
s_and_b64 s[58:59], s[54:55], s[58:59]             // in0 && in1
_v_add_lshl_u32 v195, v2, v0, 0x1                  // scaleToBpe: accumulate d0 lower and *= bpe into Cin addr
v_cndmask_b32 v195, -1, v195, s[58:59]             // LDC clip if OOB. offset
_buffer_load_d16_b16 v196, v195, s[sgprSrdC:sgprSrdC+3], 0, offen offset:0,  sc0 sc1 // load C for beta calc
_v_add_lshl_u32 v195, v3, v0, 0x1                  // scaleToBpe: accumulate d0 lower and *= bpe into Cin addr
v_cndmask_b32 v195, -1, v195, s[58:59]             // LDD clip if OOB. offset
/* (d1,vc1,d0,vc0)=(2,1,1,0) */
_v_add_co_u32 v4, vcc, v0, 32                      // coord0.1: coord0 += d0*sg0*VW + vc0
v_cmp_lt_u32 s[54:55], v4, s[sgprSizeI]            // coord0 < size0
v_cmp_lt_u32 s[58:59], v1, s[sgprSizeJ]            // coord1 < size1
s_and_b64 s[58:59], s[54:55], s[58:59]             // in0 && in1
_v_add_lshl_u32 v198, v2, v4, 0x1                  // scaleToBpe: accumulate d0 lower and *= bpe into Cin addr
v_cndmask_b32 v198, -1, v198, s[58:59]             // LDC clip if OOB. offset
_buffer_load_d16_b16 v199, v198, s[sgprSrdC:sgprSrdC+3], 0, offen offset:0,  sc0 sc1 // load C for beta calc
_v_add_lshl_u32 v198, v3, v4, 0x1                  // scaleToBpe: accumulate d0 lower and *= bpe into Cin addr
v_cndmask_b32 v198, -1, v198, s[58:59]             // LDD clip if OOB. offset
/* (d1,vc1,d0,vc0)=(2,1,2,0) */
_v_add_co_u32 v4, vcc, v0, 64                      // coord0.1: coord0 += d0*sg0*VW + vc0
v_cmp_lt_u32 s[54:55], v4, s[sgprSizeI]            // coord0 < size0
v_cmp_lt_u32 s[58:59], v1, s[sgprSizeJ]            // coord1 < size1
s_and_b64 s[58:59], s[54:55], s[58:59]             // in0 && in1
_v_add_lshl_u32 v201, v2, v4, 0x1                  // scaleToBpe: accumulate d0 lower and *= bpe into Cin addr
v_cndmask_b32 v201, -1, v201, s[58:59]             // LDC clip if OOB. offset
_buffer_load_d16_b16 v202, v201, s[sgprSrdC:sgprSrdC+3], 0, offen offset:0,  sc0 sc1 // load C for beta calc
_v_add_lshl_u32 v201, v3, v4, 0x1                  // scaleToBpe: accumulate d0 lower and *= bpe into Cin addr
v_cndmask_b32 v201, -1, v201, s[58:59]             // LDD clip if OOB. offset
/* (d1,vc1,d0,vc0)=(2,1,3,0) */
s_mov_b32 s54, 96                                  // coordOffset0 d0=3 vc0=0
_v_add_co_u32 v4, vcc, v0, s54                     // coord0.2: coord0 += d0*sg0*VW + vc0
v_cmp_lt_u32 s[54:55], v4, s[sgprSizeI]            // coord0 < size0
v_cmp_lt_u32 s[58:59], v1, s[sgprSizeJ]            // coord1 < size1
s_and_b64 s[58:59], s[54:55], s[58:59]             // in0 && in1
_v_add_lshl_u32 v204, v2, v4, 0x1                  // scaleToBpe: accumulate d0 lower and *= bpe into Cin addr
v_cndmask_b32 v204, -1, v204, s[58:59]             // LDC clip if OOB. offset
_buffer_load_d16_b16 v205, v204, s[sgprSrdC:sgprSrdC+3], 0, offen offset:0,  sc0 sc1 // load C for beta calc
_v_add_lshl_u32 v204, v3, v4, 0x1                  // scaleToBpe: accumulate d0 lower and *= bpe into Cin addr
v_cndmask_b32 v204, -1, v204, s[58:59]             // LDD clip if OOB. offset
/* (d1,vc1,d0,vc0)=(2,1,4,0) */
s_mov_b32 s54, 128                                 // coordOffset0 d0=4 vc0=0
_v_add_co_u32 v4, vcc, v0, s54                     // coord0.2: coord0 += d0*sg0*VW + vc0
v_cmp_lt_u32 s[54:55], v4, s[sgprSizeI]            // coord0 < size0
v_cmp_lt_u32 s[58:59], v1, s[sgprSizeJ]            // coord1 < size1
s_and_b64 s[58:59], s[54:55], s[58:59]             // in0 && in1
_v_add_lshl_u32 v207, v2, v4, 0x1                  // scaleToBpe: accumulate d0 lower and *= bpe into Cin addr
v_cndmask_b32 v207, -1, v207, s[58:59]             // LDC clip if OOB. offset
_buffer_load_d16_b16 v208, v207, s[sgprSrdC:sgprSrdC+3], 0, offen offset:0,  sc0 sc1 // load C for beta calc
_v_add_lshl_u32 v207, v3, v4, 0x1                  // scaleToBpe: accumulate d0 lower and *= bpe into Cin addr
v_cndmask_b32 v207, -1, v207, s[58:59]             // LDD clip if OOB. offset
/* (d1,vc1,d0,vc0)=(2,1,5,0) */
s_mov_b32 s54, 160                                 // coordOffset0 d0=5 vc0=0
	;; [unrolled: 11-line block ×3, first 2 shown]
_v_add_co_u32 v4, vcc, v0, s54                     // coord0.2: coord0 += d0*sg0*VW + vc0
v_cmp_lt_u32 s[54:55], v4, s[sgprSizeI]            // coord0 < size0
v_cmp_lt_u32 s[58:59], v1, s[sgprSizeJ]            // coord1 < size1
s_and_b64 s[58:59], s[54:55], s[58:59]             // in0 && in1
_v_add_lshl_u32 v213, v2, v4, 0x1                  // scaleToBpe: accumulate d0 lower and *= bpe into Cin addr
v_cndmask_b32 v213, -1, v213, s[58:59]             // LDC clip if OOB. offset
_buffer_load_d16_b16 v214, v213, s[sgprSrdC:sgprSrdC+3], 0, offen offset:0,  sc0 sc1 // load C for beta calc
_v_add_lshl_u32 v213, v3, v4, 0x1                  // scaleToBpe: accumulate d0 lower and *= bpe into Cin addr
v_cndmask_b32 v213, -1, v213, s[58:59]             // LDD clip if OOB. offset
/* (d1,vc1,d0,vc0)=(2,2,0,0) */
_v_add_co_u32 v1, vcc, v1, 1                       // coord1.1: coord1Vgpr += d1*sg1*VW + vc1

/* Fix for UseInitialStridesCD, emitAddressSetupCode */
_v_add_u32 v2, v2, s[sgprStrideC1J]                // ROWINC- Move cinRowPtr to next row
_v_add_u32 v3, v3, s[sgprStrideD1J]                // Move coutRowPtr to next row
v_cmp_lt_u32 s[54:55], v0, s[sgprSizeI]            // coord0 < size0
v_cmp_lt_u32 s[58:59], v1, s[sgprSizeJ]            // coord1 < size1
s_and_b64 s[58:59], s[54:55], s[58:59]             // in0 && in1
_v_add_lshl_u32 v216, v2, v0, 0x1                  // scaleToBpe: accumulate d0 lower and *= bpe into Cin addr
v_cndmask_b32 v216, -1, v216, s[58:59]             // LDC clip if OOB. offset
_buffer_load_d16_b16 v217, v216, s[sgprSrdC:sgprSrdC+3], 0, offen offset:0,  sc0 sc1 // load C for beta calc
_v_add_lshl_u32 v216, v3, v0, 0x1                  // scaleToBpe: accumulate d0 lower and *= bpe into Cin addr
v_cndmask_b32 v216, -1, v216, s[58:59]             // LDD clip if OOB. offset
/* (d1,vc1,d0,vc0)=(2,2,1,0) */
_v_add_co_u32 v4, vcc, v0, 32                      // coord0.1: coord0 += d0*sg0*VW + vc0
v_cmp_lt_u32 s[54:55], v4, s[sgprSizeI]            // coord0 < size0
v_cmp_lt_u32 s[58:59], v1, s[sgprSizeJ]            // coord1 < size1
s_and_b64 s[58:59], s[54:55], s[58:59]             // in0 && in1
_v_add_lshl_u32 v219, v2, v4, 0x1                  // scaleToBpe: accumulate d0 lower and *= bpe into Cin addr
v_cndmask_b32 v219, -1, v219, s[58:59]             // LDC clip if OOB. offset
_buffer_load_d16_b16 v220, v219, s[sgprSrdC:sgprSrdC+3], 0, offen offset:0,  sc0 sc1 // load C for beta calc
_v_add_lshl_u32 v219, v3, v4, 0x1                  // scaleToBpe: accumulate d0 lower and *= bpe into Cin addr
v_cndmask_b32 v219, -1, v219, s[58:59]             // LDD clip if OOB. offset
/* (d1,vc1,d0,vc0)=(2,2,2,0) */
_v_add_co_u32 v4, vcc, v0, 64                      // coord0.1: coord0 += d0*sg0*VW + vc0
v_cmp_lt_u32 s[54:55], v4, s[sgprSizeI]            // coord0 < size0
v_cmp_lt_u32 s[58:59], v1, s[sgprSizeJ]            // coord1 < size1
s_and_b64 s[58:59], s[54:55], s[58:59]             // in0 && in1
_v_add_lshl_u32 v222, v2, v4, 0x1                  // scaleToBpe: accumulate d0 lower and *= bpe into Cin addr
v_cndmask_b32 v222, -1, v222, s[58:59]             // LDC clip if OOB. offset
_buffer_load_d16_b16 v223, v222, s[sgprSrdC:sgprSrdC+3], 0, offen offset:0,  sc0 sc1 // load C for beta calc
_v_add_lshl_u32 v222, v3, v4, 0x1                  // scaleToBpe: accumulate d0 lower and *= bpe into Cin addr
v_cndmask_b32 v222, -1, v222, s[58:59]             // LDD clip if OOB. offset
/* (d1,vc1,d0,vc0)=(2,2,3,0) */
s_mov_b32 s54, 96                                  // coordOffset0 d0=3 vc0=0
_v_add_co_u32 v4, vcc, v0, s54                     // coord0.2: coord0 += d0*sg0*VW + vc0
v_cmp_lt_u32 s[54:55], v4, s[sgprSizeI]            // coord0 < size0
v_cmp_lt_u32 s[58:59], v1, s[sgprSizeJ]            // coord1 < size1
s_and_b64 s[58:59], s[54:55], s[58:59]             // in0 && in1
_v_add_lshl_u32 v225, v2, v4, 0x1                  // scaleToBpe: accumulate d0 lower and *= bpe into Cin addr
v_cndmask_b32 v225, -1, v225, s[58:59]             // LDC clip if OOB. offset
_buffer_load_d16_b16 v226, v225, s[sgprSrdC:sgprSrdC+3], 0, offen offset:0,  sc0 sc1 // load C for beta calc
_v_add_lshl_u32 v225, v3, v4, 0x1                  // scaleToBpe: accumulate d0 lower and *= bpe into Cin addr
v_cndmask_b32 v225, -1, v225, s[58:59]             // LDD clip if OOB. offset
/* (d1,vc1,d0,vc0)=(2,2,4,0) */
s_mov_b32 s54, 128                                 // coordOffset0 d0=4 vc0=0
_v_add_co_u32 v4, vcc, v0, s54                     // coord0.2: coord0 += d0*sg0*VW + vc0
v_cmp_lt_u32 s[54:55], v4, s[sgprSizeI]            // coord0 < size0
v_cmp_lt_u32 s[58:59], v1, s[sgprSizeJ]            // coord1 < size1
s_and_b64 s[58:59], s[54:55], s[58:59]             // in0 && in1
_v_add_lshl_u32 v228, v2, v4, 0x1                  // scaleToBpe: accumulate d0 lower and *= bpe into Cin addr
v_cndmask_b32 v228, -1, v228, s[58:59]             // LDC clip if OOB. offset
_buffer_load_d16_b16 v229, v228, s[sgprSrdC:sgprSrdC+3], 0, offen offset:0,  sc0 sc1 // load C for beta calc
_v_add_lshl_u32 v228, v3, v4, 0x1                  // scaleToBpe: accumulate d0 lower and *= bpe into Cin addr
v_cndmask_b32 v228, -1, v228, s[58:59]             // LDD clip if OOB. offset
/* (d1,vc1,d0,vc0)=(2,2,5,0) */
s_mov_b32 s54, 160                                 // coordOffset0 d0=5 vc0=0
	;; [unrolled: 11-line block ×3, first 2 shown]
_v_add_co_u32 v4, vcc, v0, s54                     // coord0.2: coord0 += d0*sg0*VW + vc0
v_cmp_lt_u32 s[54:55], v4, s[sgprSizeI]            // coord0 < size0
v_cmp_lt_u32 s[58:59], v1, s[sgprSizeJ]            // coord1 < size1
s_and_b64 s[58:59], s[54:55], s[58:59]             // in0 && in1
_v_add_lshl_u32 v234, v2, v4, 0x1                  // scaleToBpe: accumulate d0 lower and *= bpe into Cin addr
v_cndmask_b32 v234, -1, v234, s[58:59]             // LDC clip if OOB. offset
_buffer_load_d16_b16 v235, v234, s[sgprSrdC:sgprSrdC+3], 0, offen offset:0,  sc0 sc1 // load C for beta calc
_v_add_lshl_u32 v234, v3, v4, 0x1                  // scaleToBpe: accumulate d0 lower and *= bpe into Cin addr
v_cndmask_b32 v234, -1, v234, s[58:59]             // LDD clip if OOB. offset
/* (d1,vc1,d0,vc0)=(2,3,0,0) */
_v_add_co_u32 v1, vcc, v1, 1                       // coord1.1: coord1Vgpr += d1*sg1*VW + vc1

/* Fix for UseInitialStridesCD, emitAddressSetupCode */
_v_add_u32 v2, v2, s[sgprStrideC1J]                // ROWINC- Move cinRowPtr to next row
_v_add_u32 v3, v3, s[sgprStrideD1J]                // Move coutRowPtr to next row
v_cmp_lt_u32 s[54:55], v0, s[sgprSizeI]            // coord0 < size0
v_cmp_lt_u32 s[58:59], v1, s[sgprSizeJ]            // coord1 < size1
s_and_b64 s[58:59], s[54:55], s[58:59]             // in0 && in1
_v_add_lshl_u32 v237, v2, v0, 0x1                  // scaleToBpe: accumulate d0 lower and *= bpe into Cin addr
v_cndmask_b32 v237, -1, v237, s[58:59]             // LDC clip if OOB. offset
_buffer_load_d16_b16 v238, v237, s[sgprSrdC:sgprSrdC+3], 0, offen offset:0,  sc0 sc1 // load C for beta calc
_v_add_lshl_u32 v237, v3, v0, 0x1                  // scaleToBpe: accumulate d0 lower and *= bpe into Cin addr
v_cndmask_b32 v237, -1, v237, s[58:59]             // LDD clip if OOB. offset
/* (d1,vc1,d0,vc0)=(2,3,1,0) */
_v_add_co_u32 v4, vcc, v0, 32                      // coord0.1: coord0 += d0*sg0*VW + vc0
v_cmp_lt_u32 s[54:55], v4, s[sgprSizeI]            // coord0 < size0
v_cmp_lt_u32 s[58:59], v1, s[sgprSizeJ]            // coord1 < size1
s_and_b64 s[58:59], s[54:55], s[58:59]             // in0 && in1
_v_add_lshl_u32 v240, v2, v4, 0x1                  // scaleToBpe: accumulate d0 lower and *= bpe into Cin addr
v_cndmask_b32 v240, -1, v240, s[58:59]             // LDC clip if OOB. offset
_buffer_load_d16_b16 v241, v240, s[sgprSrdC:sgprSrdC+3], 0, offen offset:0,  sc0 sc1 // load C for beta calc
_v_add_lshl_u32 v240, v3, v4, 0x1                  // scaleToBpe: accumulate d0 lower and *= bpe into Cin addr
v_cndmask_b32 v240, -1, v240, s[58:59]             // LDD clip if OOB. offset
/* (d1,vc1,d0,vc0)=(2,3,2,0) */
_v_add_co_u32 v4, vcc, v0, 64                      // coord0.1: coord0 += d0*sg0*VW + vc0
v_cmp_lt_u32 s[54:55], v4, s[sgprSizeI]            // coord0 < size0
v_cmp_lt_u32 s[58:59], v1, s[sgprSizeJ]            // coord1 < size1
s_and_b64 s[58:59], s[54:55], s[58:59]             // in0 && in1
_v_add_lshl_u32 v246, v2, v4, 0x1                  // scaleToBpe: accumulate d0 lower and *= bpe into Cin addr
v_cndmask_b32 v246, -1, v246, s[58:59]             // LDC clip if OOB. offset
_buffer_load_d16_b16 v247, v246, s[sgprSrdC:sgprSrdC+3], 0, offen offset:0,  sc0 sc1 // load C for beta calc
_v_add_lshl_u32 v246, v3, v4, 0x1                  // scaleToBpe: accumulate d0 lower and *= bpe into Cin addr
v_cndmask_b32 v246, -1, v246, s[58:59]             // LDD clip if OOB. offset
s_sleep 5 // optimization: sync and wait
s_barrier
v_accvgpr_read_b32 v[vgprValuC+8], acc0 // copy acc to vreg[0]
v_accvgpr_read_b32 v[vgprValuC+11], acc4 // copy acc to vreg[1]
v_accvgpr_read_b32 v[vgprValuC+14], acc8 // copy acc to vreg[2]
v_accvgpr_read_b32 v[vgprValuC+17], acc12 // copy acc to vreg[3]
v_accvgpr_read_b32 v[vgprValuC+20], acc16 // copy acc to vreg[4]
v_accvgpr_read_b32 v[vgprValuC+23], acc20 // copy acc to vreg[5]
v_accvgpr_read_b32 v[vgprValuC+26], acc24 // copy acc to vreg[6]
v_accvgpr_read_b32 v[vgprValuC+29], acc1 // copy acc to vreg[7]
v_accvgpr_read_b32 v[vgprValuC+32], acc5 // copy acc to vreg[8]
v_accvgpr_read_b32 v[vgprValuC+35], acc9 // copy acc to vreg[9]
v_accvgpr_read_b32 v[vgprValuC+38], acc13 // copy acc to vreg[10]
v_accvgpr_read_b32 v[vgprValuC+41], acc17 // copy acc to vreg[11]
v_accvgpr_read_b32 v[vgprValuC+44], acc21 // copy acc to vreg[12]
v_accvgpr_read_b32 v[vgprValuC+47], acc25 // copy acc to vreg[13]
v_accvgpr_read_b32 v[vgprValuC+50], acc2 // copy acc to vreg[14]
v_accvgpr_read_b32 v[vgprValuC+53], acc6 // copy acc to vreg[15]
v_accvgpr_read_b32 v[vgprValuC+56], acc10 // copy acc to vreg[16]
v_accvgpr_read_b32 v[vgprValuC+59], acc14 // copy acc to vreg[17]
v_accvgpr_read_b32 v[vgprValuC+62], acc18 // copy acc to vreg[18]
v_accvgpr_read_b32 v[vgprValuC+65], acc22 // copy acc to vreg[19]
v_accvgpr_read_b32 v[vgprValuC+68], acc26 // copy acc to vreg[20]
v_accvgpr_read_b32 v[vgprValuC+71], acc3 // copy acc to vreg[21]
v_accvgpr_read_b32 v[vgprValuC+74], acc7 // copy acc to vreg[22]
v_accvgpr_read_b32 v[vgprValuC+77], acc11 // copy acc to vreg[23]
v_accvgpr_read_b32 v[vgprValuC+80], acc15 // copy acc to vreg[24]
v_accvgpr_read_b32 v[vgprValuC+83], acc19 // copy acc to vreg[25]
v_accvgpr_read_b32 v[vgprValuC+86], acc23 // copy acc to vreg[26]
v_accvgpr_read_b32 v[vgprValuC+89], acc27 // copy acc to vreg[27]
v_accvgpr_read_b32 v[vgprValuC+92], acc28 // copy acc to vreg[28]
v_accvgpr_read_b32 v[vgprValuC+95], acc32 // copy acc to vreg[29]
v_accvgpr_read_b32 v[vgprValuC+98], acc36 // copy acc to vreg[30]
v_accvgpr_read_b32 v[vgprValuC+101], acc40 // copy acc to vreg[31]
v_accvgpr_read_b32 v[vgprValuC+104], acc44 // copy acc to vreg[32]
v_accvgpr_read_b32 v[vgprValuC+107], acc48 // copy acc to vreg[33]
v_accvgpr_read_b32 v[vgprValuC+110], acc52 // copy acc to vreg[34]
v_accvgpr_read_b32 v[vgprValuC+113], acc29 // copy acc to vreg[35]
v_accvgpr_read_b32 v[vgprValuC+116], acc33 // copy acc to vreg[36]
v_accvgpr_read_b32 v[vgprValuC+119], acc37 // copy acc to vreg[37]
v_accvgpr_read_b32 v[vgprValuC+122], acc41 // copy acc to vreg[38]
v_accvgpr_read_b32 v[vgprValuC+125], acc45 // copy acc to vreg[39]
v_accvgpr_read_b32 v[vgprValuC+128], acc49 // copy acc to vreg[40]
v_accvgpr_read_b32 v[vgprValuC+131], acc53 // copy acc to vreg[41]
v_accvgpr_read_b32 v[vgprValuC+134], acc30 // copy acc to vreg[42]
v_accvgpr_read_b32 v[vgprValuC+137], acc34 // copy acc to vreg[43]
v_accvgpr_read_b32 v[vgprValuC+140], acc38 // copy acc to vreg[44]
v_accvgpr_read_b32 v[vgprValuC+143], acc42 // copy acc to vreg[45]
v_accvgpr_read_b32 v[vgprValuC+146], acc46 // copy acc to vreg[46]
v_accvgpr_read_b32 v[vgprValuC+149], acc50 // copy acc to vreg[47]
v_accvgpr_read_b32 v[vgprValuC+152], acc54 // copy acc to vreg[48]
v_accvgpr_read_b32 v[vgprValuC+155], acc31 // copy acc to vreg[49]
v_accvgpr_read_b32 v[vgprValuC+158], acc35 // copy acc to vreg[50]
v_accvgpr_read_b32 v[vgprValuC+161], acc39 // copy acc to vreg[51]
v_accvgpr_read_b32 v[vgprValuC+164], acc43 // copy acc to vreg[52]
v_accvgpr_read_b32 v[vgprValuC+167], acc47 // copy acc to vreg[53]
v_accvgpr_read_b32 v[vgprValuC+170], acc51 // copy acc to vreg[54]
v_accvgpr_read_b32 v[vgprValuC+173], acc55 // copy acc to vreg[55]
v_accvgpr_read_b32 v[vgprValuC+176], acc56 // copy acc to vreg[56]
v_accvgpr_read_b32 v[vgprValuC+179], acc60 // copy acc to vreg[57]
v_accvgpr_read_b32 v[vgprValuC+182], acc64 // copy acc to vreg[58]
v_accvgpr_read_b32 v[vgprValuC+185], acc68 // copy acc to vreg[59]
v_accvgpr_read_b32 v[vgprValuC+188], acc72 // copy acc to vreg[60]
v_accvgpr_read_b32 v[vgprValuC+191], acc76 // copy acc to vreg[61]
v_accvgpr_read_b32 v[vgprValuC+194], acc80 // copy acc to vreg[62]
v_accvgpr_read_b32 v[vgprValuC+197], acc57 // copy acc to vreg[63]
v_accvgpr_read_b32 v[vgprValuC+200], acc61 // copy acc to vreg[64]
v_accvgpr_read_b32 v[vgprValuC+203], acc65 // copy acc to vreg[65]
v_accvgpr_read_b32 v[vgprValuC+206], acc69 // copy acc to vreg[66]
v_accvgpr_read_b32 v[vgprValuC+209], acc73 // copy acc to vreg[67]
v_accvgpr_read_b32 v[vgprValuC+212], acc77 // copy acc to vreg[68]
v_accvgpr_read_b32 v[vgprValuC+215], acc81 // copy acc to vreg[69]
v_accvgpr_read_b32 v[vgprValuC+218], acc58 // copy acc to vreg[70]
v_accvgpr_read_b32 v[vgprValuC+221], acc62 // copy acc to vreg[71]
v_accvgpr_read_b32 v[vgprValuC+224], acc66 // copy acc to vreg[72]
v_accvgpr_read_b32 v[vgprValuC+227], acc70 // copy acc to vreg[73]
v_accvgpr_read_b32 v[vgprValuC+230], acc74 // copy acc to vreg[74]
v_accvgpr_read_b32 v[vgprValuC+233], acc78 // copy acc to vreg[75]
v_accvgpr_read_b32 v[vgprValuC+236], acc82 // copy acc to vreg[76]
v_accvgpr_read_b32 v[vgprValuC+239], acc59 // copy acc to vreg[77]
v_accvgpr_read_b32 v[vgprValuC+245], acc63 // copy acc to vreg[78]
v_accvgpr_read_b32 v[vgprValuC+248], acc67 // copy acc to vreg[79]
s_nop 1                                            // 2 wait states required before reading vgpr

/* rC *= alpha batchElements=[(0, 0, 0, 0), (0, 1, 0, 0), (0, 2, 0, 0), (0, 3, 0, 0), (0, 4, 0, 0), (0, 5, 0, 0), (0, 6, 0, 0), (0, 0, 1, 0), (0, 1, 1, 0), (0, 2, 1, 0), (0, 3, 1, 0), (0, 4, 1, 0), (0, 5, 1, 0), (0, 6, 1, 0), (0, 0, 2, 0), (0, 1, 2, 0), (0, 2, 2, 0), (0, 3, 2, 0), (0, 4, 2, 0), (0, 5, 2, 0), (0, 6, 2, 0), (0, 0, 3, 0), (0, 1, 3, 0), (0, 2, 3, 0), (0, 3, 3, 0), (0, 4, 3, 0), (0, 5, 3, 0), (0, 6, 3, 0), (1, 0, 0, 0), (1, 1, 0, 0), (1, 2, 0, 0), (1, 3, 0, 0), (1, 4, 0, 0), (1, 5, 0, 0), (1, 6, 0, 0), (1, 0, 1, 0), (1, 1, 1, 0), (1, 2, 1, 0), (1, 3, 1, 0), (1, 4, 1, 0), (1, 5, 1, 0), (1, 6, 1, 0), (1, 0, 2, 0), (1, 1, 2, 0), (1, 2, 2, 0), (1, 3, 2, 0), (1, 4, 2, 0), (1, 5, 2, 0), (1, 6, 2, 0), (1, 0, 3, 0), (1, 1, 3, 0), (1, 2, 3, 0), (1, 3, 3, 0), (1, 4, 3, 0), (1, 5, 3, 0), (1, 6, 3, 0), (2, 0, 0, 0), (2, 1, 0, 0), (2, 2, 0, 0), (2, 3, 0, 0), (2, 4, 0, 0), (2, 5, 0, 0), (2, 6, 0, 0), (2, 0, 1, 0), (2, 1, 1, 0), (2, 2, 1, 0), (2, 3, 1, 0), (2, 4, 1, 0), (2, 5, 1, 0), (2, 6, 1, 0), (2, 0, 2, 0), (2, 1, 2, 0), (2, 2, 2, 0), (2, 3, 2, 0), (2, 4, 2, 0), (2, 5, 2, 0), (2, 6, 2, 0), (2, 0, 3, 0), (2, 1, 3, 0), (2, 2, 3, 0)] */
v_mul_f32 v[vgprValuC+8], s[sgprAlpha], v[vgprValuC+8] // *= alpha
v_mul_f32 v[vgprValuC+11], s[sgprAlpha], v[vgprValuC+11] // *= alpha
	;; [unrolled: 1-line block ×80, first 2 shown]
s_waitcnt vmcnt(0)                                 // wait C

/* apply mask, calc new C and issue writes */
v_fma_mix_f32 v[vgprValuC+8], s[sgprBeta], v7, v[vgprValuC+8], op_sel:[0,0,0] op_sel_hi:[0,1,0] // //C*=beta
v_cvt_f16_f32 v[vgprValuC+8], v[vgprValuC+8]       // convert C to fp16
_buffer_store_b16 v8, v6, s[sgprSrdD:sgprSrdD+3], 0, offen, offset:0,  sc0 sc1 // store D
v_fma_mix_f32 v[vgprValuC+11], s[sgprBeta], v10, v[vgprValuC+11], op_sel:[0,0,0] op_sel_hi:[0,1,0] // //C*=beta
v_cvt_f16_f32 v[vgprValuC+11], v[vgprValuC+11]     // convert C to fp16
_buffer_store_b16 v11, v9, s[sgprSrdD:sgprSrdD+3], 0, offen, offset:0,  sc0 sc1 // store D
v_fma_mix_f32 v[vgprValuC+14], s[sgprBeta], v13, v[vgprValuC+14], op_sel:[0,0,0] op_sel_hi:[0,1,0] // //C*=beta
v_cvt_f16_f32 v[vgprValuC+14], v[vgprValuC+14]     // convert C to fp16
	;; [unrolled: 3-line block ×30, first 2 shown]
_buffer_store_b16 v98, v96, s[sgprSrdD:sgprSrdD+3], 0, offen, offset:0,  sc0 sc1 // store D
v_fma_mix_f32 v[vgprValuC+101], s[sgprBeta], v100, v[vgprValuC+101], op_sel:[0,0,0] op_sel_hi:[0,1,0] // //C*=beta
v_cvt_f16_f32 v[vgprValuC+101], v[vgprValuC+101]   // convert C to fp16
_buffer_store_b16 v101, v99, s[sgprSrdD:sgprSrdD+3], 0, offen, offset:0,  sc0 sc1 // store D
v_fma_mix_f32 v[vgprValuC+104], s[sgprBeta], v103, v[vgprValuC+104], op_sel:[0,0,0] op_sel_hi:[0,1,0] // //C*=beta
v_cvt_f16_f32 v[vgprValuC+104], v[vgprValuC+104]   // convert C to fp16
	;; [unrolled: 3-line block ×49, first 2 shown]
_buffer_store_b16 v248, v246, s[sgprSrdD:sgprSrdD+3], 0, offen, offset:0,  sc0 sc1 // store D
s_nop 0                                            // 1 wait state required when next inst writes vgprs held by previous dwordx4 store inst
/* optSingleColVgpr=0 optSharedColVgpr=0 optSGPRUsage=BufferLoad_Edge_Mask optSrdIncForRow=0 */
s_sleep 5 // optimization: sync and wait
s_barrier

/******************************************/
/* Global Write Alpha Beta Edge Batch #1 (d1,d0,vc1,vc0) = */
/*    (2,3,3,0:vw1); (2,4,3,0:vw1); (2,5,3,0:vw1); (2,6,3,0:vw1); (3,0,0,0:vw1); (3,1,0,0:vw1); (3,2,0,0:vw1); (3,3,0,0:vw1); (3,4,0,0:vw1); (3,5,0,0:vw1); (3,6,0,0:vw1); (3,0,1,0:vw1); (3,1,1,0:vw1); (3,2,1,0:vw1); (3,3,1,0:vw1); (3,4,1,0:vw1); (3,5,1,0:vw1); (3,6,1,0:vw1); (3,0,2,0:vw1); (3,1,2,0:vw1); (3,2,2,0:vw1); (3,3,2,0:vw1); (3,4,2,0:vw1); (3,5,2,0:vw1); (3,6,2,0:vw1); (3,0,3,0:vw1); (3,1,3,0:vw1); (3,2,3,0:vw1); (3,3,3,0:vw1); (3,4,3,0:vw1); (3,5,3,0:vw1); (3,6,3,0:vw1); (4,0,0,0:vw1); (4,1,0,0:vw1); (4,2,0,0:vw1); (4,3,0,0:vw1); (4,4,0,0:vw1); (4,5,0,0:vw1); (4,6,0,0:vw1); (4,0,1,0:vw1); (4,1,1,0:vw1); (4,2,1,0:vw1); (4,3,1,0:vw1); (4,4,1,0:vw1); (4,5,1,0:vw1); (4,6,1,0:vw1); (4,0,2,0:vw1); (4,1,2,0:vw1); (4,2,2,0:vw1); (4,3,2,0:vw1); (4,4,2,0:vw1); (4,5,2,0:vw1); (4,6,2,0:vw1); (4,0,3,0:vw1); (4,1,3,0:vw1); (4,2,3,0:vw1); (4,3,3,0:vw1); (4,4,3,0:vw1); (4,5,3,0:vw1); (4,6,3,0:vw1); (5,0,0,0:vw1); (5,1,0,0:vw1); (5,2,0,0:vw1); (5,3,0,0:vw1); (5,4,0,0:vw1); (5,5,0,0:vw1); (5,6,0,0:vw1); (5,0,1,0:vw1); (5,1,1,0:vw1); (5,2,1,0:vw1); (5,3,1,0:vw1); (5,4,1,0:vw1); (5,5,1,0:vw1); (5,6,1,0:vw1); (5,0,2,0:vw1); (5,1,2,0:vw1); (5,2,2,0:vw1); (5,3,2,0:vw1); (5,4,2,0:vw1); (5,5,2,0:vw1) */
/******************************************/

/* calc coords, apply mask, and issue loads (if necessary) */
/* (d1,vc1,d0,vc0)=(2,3,3,0) */
s_mov_b32 s54, 96                                  // coordOffset0 d0=3 vc0=0
_v_add_co_u32 v4, vcc, v0, s54                     // coord0.2: coord0 += d0*sg0*VW + vc0
v_cmp_lt_u32 s[54:55], v4, s[sgprSizeI]            // coord0 < size0
v_cmp_lt_u32 s[58:59], v1, s[sgprSizeJ]            // coord1 < size1
s_and_b64 s[58:59], s[54:55], s[58:59]             // in0 && in1
_v_add_lshl_u32 v6, v2, v4, 0x1                    // scaleToBpe: accumulate d0 lower and *= bpe into Cin addr
v_cndmask_b32 v6, -1, v6, s[58:59]                 // LDC clip if OOB. offset
_buffer_load_d16_b16 v7, v6, s[sgprSrdC:sgprSrdC+3], 0, offen offset:0,  sc0 sc1 // load C for beta calc
_v_add_lshl_u32 v6, v3, v4, 0x1                    // scaleToBpe: accumulate d0 lower and *= bpe into Cin addr
v_cndmask_b32 v6, -1, v6, s[58:59]                 // LDD clip if OOB. offset
/* (d1,vc1,d0,vc0)=(2,3,4,0) */
s_mov_b32 s54, 128                                 // coordOffset0 d0=4 vc0=0
_v_add_co_u32 v4, vcc, v0, s54                     // coord0.2: coord0 += d0*sg0*VW + vc0
v_cmp_lt_u32 s[54:55], v4, s[sgprSizeI]            // coord0 < size0
v_cmp_lt_u32 s[58:59], v1, s[sgprSizeJ]            // coord1 < size1
s_and_b64 s[58:59], s[54:55], s[58:59]             // in0 && in1
_v_add_lshl_u32 v9, v2, v4, 0x1                    // scaleToBpe: accumulate d0 lower and *= bpe into Cin addr
v_cndmask_b32 v9, -1, v9, s[58:59]                 // LDC clip if OOB. offset
_buffer_load_d16_b16 v10, v9, s[sgprSrdC:sgprSrdC+3], 0, offen offset:0,  sc0 sc1 // load C for beta calc
_v_add_lshl_u32 v9, v3, v4, 0x1                    // scaleToBpe: accumulate d0 lower and *= bpe into Cin addr
v_cndmask_b32 v9, -1, v9, s[58:59]                 // LDD clip if OOB. offset
/* (d1,vc1,d0,vc0)=(2,3,5,0) */
s_mov_b32 s54, 160                                 // coordOffset0 d0=5 vc0=0
_v_add_co_u32 v4, vcc, v0, s54                     // coord0.2: coord0 += d0*sg0*VW + vc0
v_cmp_lt_u32 s[54:55], v4, s[sgprSizeI]            // coord0 < size0
v_cmp_lt_u32 s[58:59], v1, s[sgprSizeJ]            // coord1 < size1
s_and_b64 s[58:59], s[54:55], s[58:59]             // in0 && in1
_v_add_lshl_u32 v12, v2, v4, 0x1                   // scaleToBpe: accumulate d0 lower and *= bpe into Cin addr
v_cndmask_b32 v12, -1, v12, s[58:59]               // LDC clip if OOB. offset
_buffer_load_d16_b16 v13, v12, s[sgprSrdC:sgprSrdC+3], 0, offen offset:0,  sc0 sc1 // load C for beta calc
_v_add_lshl_u32 v12, v3, v4, 0x1                   // scaleToBpe: accumulate d0 lower and *= bpe into Cin addr
v_cndmask_b32 v12, -1, v12, s[58:59]               // LDD clip if OOB. offset
/* (d1,vc1,d0,vc0)=(2,3,6,0) */
s_mov_b32 s54, 192                                 // coordOffset0 d0=6 vc0=0
_v_add_co_u32 v4, vcc, v0, s54                     // coord0.2: coord0 += d0*sg0*VW + vc0
v_cmp_lt_u32 s[54:55], v4, s[sgprSizeI]            // coord0 < size0
v_cmp_lt_u32 s[58:59], v1, s[sgprSizeJ]            // coord1 < size1
s_and_b64 s[58:59], s[54:55], s[58:59]             // in0 && in1
_v_add_lshl_u32 v15, v2, v4, 0x1                   // scaleToBpe: accumulate d0 lower and *= bpe into Cin addr
v_cndmask_b32 v15, -1, v15, s[58:59]               // LDC clip if OOB. offset
_buffer_load_d16_b16 v16, v15, s[sgprSrdC:sgprSrdC+3], 0, offen offset:0,  sc0 sc1 // load C for beta calc
_v_add_lshl_u32 v15, v3, v4, 0x1                   // scaleToBpe: accumulate d0 lower and *= bpe into Cin addr
v_cndmask_b32 v15, -1, v15, s[58:59]               // LDD clip if OOB. offset
/* (d1,vc1,d0,vc0)=(3,0,0,0) */
_v_add_co_u32 v1, vcc, v1, 29                      // coord1.1: coord1Vgpr += d1*sg1*VW + vc1

/* Fix for UseInitialStridesCD, emitAddressSetupCode */
s_mul_i32 s54, s[sgprStrideC1J], 29                // scale stride
_v_add_u32 v2, v2, s54                             // ROWINC- Move cinRowPtr to next row
s_mul_i32 s54, s[sgprStrideD1J], 29                // scale stride
_v_add_u32 v3, v3, s54                             // Move coutRowPtr to next row
v_cmp_lt_u32 s[54:55], v0, s[sgprSizeI]            // coord0 < size0
v_cmp_lt_u32 s[58:59], v1, s[sgprSizeJ]            // coord1 < size1
s_and_b64 s[58:59], s[54:55], s[58:59]             // in0 && in1
_v_add_lshl_u32 v18, v2, v0, 0x1                   // scaleToBpe: accumulate d0 lower and *= bpe into Cin addr
v_cndmask_b32 v18, -1, v18, s[58:59]               // LDC clip if OOB. offset
_buffer_load_d16_b16 v19, v18, s[sgprSrdC:sgprSrdC+3], 0, offen offset:0,  sc0 sc1 // load C for beta calc
_v_add_lshl_u32 v18, v3, v0, 0x1                   // scaleToBpe: accumulate d0 lower and *= bpe into Cin addr
v_cndmask_b32 v18, -1, v18, s[58:59]               // LDD clip if OOB. offset
/* (d1,vc1,d0,vc0)=(3,0,1,0) */
_v_add_co_u32 v4, vcc, v0, 32                      // coord0.1: coord0 += d0*sg0*VW + vc0
v_cmp_lt_u32 s[54:55], v4, s[sgprSizeI]            // coord0 < size0
v_cmp_lt_u32 s[58:59], v1, s[sgprSizeJ]            // coord1 < size1
s_and_b64 s[58:59], s[54:55], s[58:59]             // in0 && in1
_v_add_lshl_u32 v21, v2, v4, 0x1                   // scaleToBpe: accumulate d0 lower and *= bpe into Cin addr
v_cndmask_b32 v21, -1, v21, s[58:59]               // LDC clip if OOB. offset
_buffer_load_d16_b16 v22, v21, s[sgprSrdC:sgprSrdC+3], 0, offen offset:0,  sc0 sc1 // load C for beta calc
_v_add_lshl_u32 v21, v3, v4, 0x1                   // scaleToBpe: accumulate d0 lower and *= bpe into Cin addr
v_cndmask_b32 v21, -1, v21, s[58:59]               // LDD clip if OOB. offset
/* (d1,vc1,d0,vc0)=(3,0,2,0) */
_v_add_co_u32 v4, vcc, v0, 64                      // coord0.1: coord0 += d0*sg0*VW + vc0
v_cmp_lt_u32 s[54:55], v4, s[sgprSizeI]            // coord0 < size0
v_cmp_lt_u32 s[58:59], v1, s[sgprSizeJ]            // coord1 < size1
s_and_b64 s[58:59], s[54:55], s[58:59]             // in0 && in1
_v_add_lshl_u32 v24, v2, v4, 0x1                   // scaleToBpe: accumulate d0 lower and *= bpe into Cin addr
v_cndmask_b32 v24, -1, v24, s[58:59]               // LDC clip if OOB. offset
_buffer_load_d16_b16 v25, v24, s[sgprSrdC:sgprSrdC+3], 0, offen offset:0,  sc0 sc1 // load C for beta calc
_v_add_lshl_u32 v24, v3, v4, 0x1                   // scaleToBpe: accumulate d0 lower and *= bpe into Cin addr
v_cndmask_b32 v24, -1, v24, s[58:59]               // LDD clip if OOB. offset
/* (d1,vc1,d0,vc0)=(3,0,3,0) */
s_mov_b32 s54, 96                                  // coordOffset0 d0=3 vc0=0
_v_add_co_u32 v4, vcc, v0, s54                     // coord0.2: coord0 += d0*sg0*VW + vc0
v_cmp_lt_u32 s[54:55], v4, s[sgprSizeI]            // coord0 < size0
v_cmp_lt_u32 s[58:59], v1, s[sgprSizeJ]            // coord1 < size1
s_and_b64 s[58:59], s[54:55], s[58:59]             // in0 && in1
_v_add_lshl_u32 v27, v2, v4, 0x1                   // scaleToBpe: accumulate d0 lower and *= bpe into Cin addr
v_cndmask_b32 v27, -1, v27, s[58:59]               // LDC clip if OOB. offset
_buffer_load_d16_b16 v28, v27, s[sgprSrdC:sgprSrdC+3], 0, offen offset:0,  sc0 sc1 // load C for beta calc
_v_add_lshl_u32 v27, v3, v4, 0x1                   // scaleToBpe: accumulate d0 lower and *= bpe into Cin addr
v_cndmask_b32 v27, -1, v27, s[58:59]               // LDD clip if OOB. offset
/* (d1,vc1,d0,vc0)=(3,0,4,0) */
s_mov_b32 s54, 128                                 // coordOffset0 d0=4 vc0=0
_v_add_co_u32 v4, vcc, v0, s54                     // coord0.2: coord0 += d0*sg0*VW + vc0
v_cmp_lt_u32 s[54:55], v4, s[sgprSizeI]            // coord0 < size0
v_cmp_lt_u32 s[58:59], v1, s[sgprSizeJ]            // coord1 < size1
s_and_b64 s[58:59], s[54:55], s[58:59]             // in0 && in1
_v_add_lshl_u32 v30, v2, v4, 0x1                   // scaleToBpe: accumulate d0 lower and *= bpe into Cin addr
v_cndmask_b32 v30, -1, v30, s[58:59]               // LDC clip if OOB. offset
_buffer_load_d16_b16 v31, v30, s[sgprSrdC:sgprSrdC+3], 0, offen offset:0,  sc0 sc1 // load C for beta calc
_v_add_lshl_u32 v30, v3, v4, 0x1                   // scaleToBpe: accumulate d0 lower and *= bpe into Cin addr
v_cndmask_b32 v30, -1, v30, s[58:59]               // LDD clip if OOB. offset
/* (d1,vc1,d0,vc0)=(3,0,5,0) */
s_mov_b32 s54, 160                                 // coordOffset0 d0=5 vc0=0
	;; [unrolled: 11-line block ×3, first 2 shown]
_v_add_co_u32 v4, vcc, v0, s54                     // coord0.2: coord0 += d0*sg0*VW + vc0
v_cmp_lt_u32 s[54:55], v4, s[sgprSizeI]            // coord0 < size0
v_cmp_lt_u32 s[58:59], v1, s[sgprSizeJ]            // coord1 < size1
s_and_b64 s[58:59], s[54:55], s[58:59]             // in0 && in1
_v_add_lshl_u32 v36, v2, v4, 0x1                   // scaleToBpe: accumulate d0 lower and *= bpe into Cin addr
v_cndmask_b32 v36, -1, v36, s[58:59]               // LDC clip if OOB. offset
_buffer_load_d16_b16 v37, v36, s[sgprSrdC:sgprSrdC+3], 0, offen offset:0,  sc0 sc1 // load C for beta calc
_v_add_lshl_u32 v36, v3, v4, 0x1                   // scaleToBpe: accumulate d0 lower and *= bpe into Cin addr
v_cndmask_b32 v36, -1, v36, s[58:59]               // LDD clip if OOB. offset
/* (d1,vc1,d0,vc0)=(3,1,0,0) */
_v_add_co_u32 v1, vcc, v1, 1                       // coord1.1: coord1Vgpr += d1*sg1*VW + vc1

/* Fix for UseInitialStridesCD, emitAddressSetupCode */
_v_add_u32 v2, v2, s[sgprStrideC1J]                // ROWINC- Move cinRowPtr to next row
_v_add_u32 v3, v3, s[sgprStrideD1J]                // Move coutRowPtr to next row
v_cmp_lt_u32 s[54:55], v0, s[sgprSizeI]            // coord0 < size0
v_cmp_lt_u32 s[58:59], v1, s[sgprSizeJ]            // coord1 < size1
s_and_b64 s[58:59], s[54:55], s[58:59]             // in0 && in1
_v_add_lshl_u32 v39, v2, v0, 0x1                   // scaleToBpe: accumulate d0 lower and *= bpe into Cin addr
v_cndmask_b32 v39, -1, v39, s[58:59]               // LDC clip if OOB. offset
_buffer_load_d16_b16 v40, v39, s[sgprSrdC:sgprSrdC+3], 0, offen offset:0,  sc0 sc1 // load C for beta calc
_v_add_lshl_u32 v39, v3, v0, 0x1                   // scaleToBpe: accumulate d0 lower and *= bpe into Cin addr
v_cndmask_b32 v39, -1, v39, s[58:59]               // LDD clip if OOB. offset
/* (d1,vc1,d0,vc0)=(3,1,1,0) */
_v_add_co_u32 v4, vcc, v0, 32                      // coord0.1: coord0 += d0*sg0*VW + vc0
v_cmp_lt_u32 s[54:55], v4, s[sgprSizeI]            // coord0 < size0
v_cmp_lt_u32 s[58:59], v1, s[sgprSizeJ]            // coord1 < size1
s_and_b64 s[58:59], s[54:55], s[58:59]             // in0 && in1
_v_add_lshl_u32 v42, v2, v4, 0x1                   // scaleToBpe: accumulate d0 lower and *= bpe into Cin addr
v_cndmask_b32 v42, -1, v42, s[58:59]               // LDC clip if OOB. offset
_buffer_load_d16_b16 v43, v42, s[sgprSrdC:sgprSrdC+3], 0, offen offset:0,  sc0 sc1 // load C for beta calc
_v_add_lshl_u32 v42, v3, v4, 0x1                   // scaleToBpe: accumulate d0 lower and *= bpe into Cin addr
v_cndmask_b32 v42, -1, v42, s[58:59]               // LDD clip if OOB. offset
/* (d1,vc1,d0,vc0)=(3,1,2,0) */
_v_add_co_u32 v4, vcc, v0, 64                      // coord0.1: coord0 += d0*sg0*VW + vc0
v_cmp_lt_u32 s[54:55], v4, s[sgprSizeI]            // coord0 < size0
v_cmp_lt_u32 s[58:59], v1, s[sgprSizeJ]            // coord1 < size1
s_and_b64 s[58:59], s[54:55], s[58:59]             // in0 && in1
_v_add_lshl_u32 v45, v2, v4, 0x1                   // scaleToBpe: accumulate d0 lower and *= bpe into Cin addr
v_cndmask_b32 v45, -1, v45, s[58:59]               // LDC clip if OOB. offset
_buffer_load_d16_b16 v46, v45, s[sgprSrdC:sgprSrdC+3], 0, offen offset:0,  sc0 sc1 // load C for beta calc
_v_add_lshl_u32 v45, v3, v4, 0x1                   // scaleToBpe: accumulate d0 lower and *= bpe into Cin addr
v_cndmask_b32 v45, -1, v45, s[58:59]               // LDD clip if OOB. offset
/* (d1,vc1,d0,vc0)=(3,1,3,0) */
s_mov_b32 s54, 96                                  // coordOffset0 d0=3 vc0=0
_v_add_co_u32 v4, vcc, v0, s54                     // coord0.2: coord0 += d0*sg0*VW + vc0
v_cmp_lt_u32 s[54:55], v4, s[sgprSizeI]            // coord0 < size0
v_cmp_lt_u32 s[58:59], v1, s[sgprSizeJ]            // coord1 < size1
s_and_b64 s[58:59], s[54:55], s[58:59]             // in0 && in1
_v_add_lshl_u32 v48, v2, v4, 0x1                   // scaleToBpe: accumulate d0 lower and *= bpe into Cin addr
v_cndmask_b32 v48, -1, v48, s[58:59]               // LDC clip if OOB. offset
_buffer_load_d16_b16 v49, v48, s[sgprSrdC:sgprSrdC+3], 0, offen offset:0,  sc0 sc1 // load C for beta calc
_v_add_lshl_u32 v48, v3, v4, 0x1                   // scaleToBpe: accumulate d0 lower and *= bpe into Cin addr
v_cndmask_b32 v48, -1, v48, s[58:59]               // LDD clip if OOB. offset
/* (d1,vc1,d0,vc0)=(3,1,4,0) */
s_mov_b32 s54, 128                                 // coordOffset0 d0=4 vc0=0
_v_add_co_u32 v4, vcc, v0, s54                     // coord0.2: coord0 += d0*sg0*VW + vc0
v_cmp_lt_u32 s[54:55], v4, s[sgprSizeI]            // coord0 < size0
v_cmp_lt_u32 s[58:59], v1, s[sgprSizeJ]            // coord1 < size1
s_and_b64 s[58:59], s[54:55], s[58:59]             // in0 && in1
_v_add_lshl_u32 v51, v2, v4, 0x1                   // scaleToBpe: accumulate d0 lower and *= bpe into Cin addr
v_cndmask_b32 v51, -1, v51, s[58:59]               // LDC clip if OOB. offset
_buffer_load_d16_b16 v52, v51, s[sgprSrdC:sgprSrdC+3], 0, offen offset:0,  sc0 sc1 // load C for beta calc
_v_add_lshl_u32 v51, v3, v4, 0x1                   // scaleToBpe: accumulate d0 lower and *= bpe into Cin addr
v_cndmask_b32 v51, -1, v51, s[58:59]               // LDD clip if OOB. offset
/* (d1,vc1,d0,vc0)=(3,1,5,0) */
s_mov_b32 s54, 160                                 // coordOffset0 d0=5 vc0=0
	;; [unrolled: 11-line block ×3, first 2 shown]
_v_add_co_u32 v4, vcc, v0, s54                     // coord0.2: coord0 += d0*sg0*VW + vc0
v_cmp_lt_u32 s[54:55], v4, s[sgprSizeI]            // coord0 < size0
v_cmp_lt_u32 s[58:59], v1, s[sgprSizeJ]            // coord1 < size1
s_and_b64 s[58:59], s[54:55], s[58:59]             // in0 && in1
_v_add_lshl_u32 v57, v2, v4, 0x1                   // scaleToBpe: accumulate d0 lower and *= bpe into Cin addr
v_cndmask_b32 v57, -1, v57, s[58:59]               // LDC clip if OOB. offset
_buffer_load_d16_b16 v58, v57, s[sgprSrdC:sgprSrdC+3], 0, offen offset:0,  sc0 sc1 // load C for beta calc
_v_add_lshl_u32 v57, v3, v4, 0x1                   // scaleToBpe: accumulate d0 lower and *= bpe into Cin addr
v_cndmask_b32 v57, -1, v57, s[58:59]               // LDD clip if OOB. offset
/* (d1,vc1,d0,vc0)=(3,2,0,0) */
_v_add_co_u32 v1, vcc, v1, 1                       // coord1.1: coord1Vgpr += d1*sg1*VW + vc1

/* Fix for UseInitialStridesCD, emitAddressSetupCode */
_v_add_u32 v2, v2, s[sgprStrideC1J]                // ROWINC- Move cinRowPtr to next row
_v_add_u32 v3, v3, s[sgprStrideD1J]                // Move coutRowPtr to next row
v_cmp_lt_u32 s[54:55], v0, s[sgprSizeI]            // coord0 < size0
v_cmp_lt_u32 s[58:59], v1, s[sgprSizeJ]            // coord1 < size1
s_and_b64 s[58:59], s[54:55], s[58:59]             // in0 && in1
_v_add_lshl_u32 v60, v2, v0, 0x1                   // scaleToBpe: accumulate d0 lower and *= bpe into Cin addr
v_cndmask_b32 v60, -1, v60, s[58:59]               // LDC clip if OOB. offset
_buffer_load_d16_b16 v61, v60, s[sgprSrdC:sgprSrdC+3], 0, offen offset:0,  sc0 sc1 // load C for beta calc
_v_add_lshl_u32 v60, v3, v0, 0x1                   // scaleToBpe: accumulate d0 lower and *= bpe into Cin addr
v_cndmask_b32 v60, -1, v60, s[58:59]               // LDD clip if OOB. offset
/* (d1,vc1,d0,vc0)=(3,2,1,0) */
_v_add_co_u32 v4, vcc, v0, 32                      // coord0.1: coord0 += d0*sg0*VW + vc0
v_cmp_lt_u32 s[54:55], v4, s[sgprSizeI]            // coord0 < size0
v_cmp_lt_u32 s[58:59], v1, s[sgprSizeJ]            // coord1 < size1
s_and_b64 s[58:59], s[54:55], s[58:59]             // in0 && in1
_v_add_lshl_u32 v63, v2, v4, 0x1                   // scaleToBpe: accumulate d0 lower and *= bpe into Cin addr
v_cndmask_b32 v63, -1, v63, s[58:59]               // LDC clip if OOB. offset
_buffer_load_d16_b16 v64, v63, s[sgprSrdC:sgprSrdC+3], 0, offen offset:0,  sc0 sc1 // load C for beta calc
_v_add_lshl_u32 v63, v3, v4, 0x1                   // scaleToBpe: accumulate d0 lower and *= bpe into Cin addr
v_cndmask_b32 v63, -1, v63, s[58:59]               // LDD clip if OOB. offset
/* (d1,vc1,d0,vc0)=(3,2,2,0) */
_v_add_co_u32 v4, vcc, v0, 64                      // coord0.1: coord0 += d0*sg0*VW + vc0
v_cmp_lt_u32 s[54:55], v4, s[sgprSizeI]            // coord0 < size0
v_cmp_lt_u32 s[58:59], v1, s[sgprSizeJ]            // coord1 < size1
s_and_b64 s[58:59], s[54:55], s[58:59]             // in0 && in1
_v_add_lshl_u32 v66, v2, v4, 0x1                   // scaleToBpe: accumulate d0 lower and *= bpe into Cin addr
v_cndmask_b32 v66, -1, v66, s[58:59]               // LDC clip if OOB. offset
_buffer_load_d16_b16 v67, v66, s[sgprSrdC:sgprSrdC+3], 0, offen offset:0,  sc0 sc1 // load C for beta calc
_v_add_lshl_u32 v66, v3, v4, 0x1                   // scaleToBpe: accumulate d0 lower and *= bpe into Cin addr
v_cndmask_b32 v66, -1, v66, s[58:59]               // LDD clip if OOB. offset
/* (d1,vc1,d0,vc0)=(3,2,3,0) */
s_mov_b32 s54, 96                                  // coordOffset0 d0=3 vc0=0
_v_add_co_u32 v4, vcc, v0, s54                     // coord0.2: coord0 += d0*sg0*VW + vc0
v_cmp_lt_u32 s[54:55], v4, s[sgprSizeI]            // coord0 < size0
v_cmp_lt_u32 s[58:59], v1, s[sgprSizeJ]            // coord1 < size1
s_and_b64 s[58:59], s[54:55], s[58:59]             // in0 && in1
_v_add_lshl_u32 v69, v2, v4, 0x1                   // scaleToBpe: accumulate d0 lower and *= bpe into Cin addr
v_cndmask_b32 v69, -1, v69, s[58:59]               // LDC clip if OOB. offset
_buffer_load_d16_b16 v70, v69, s[sgprSrdC:sgprSrdC+3], 0, offen offset:0,  sc0 sc1 // load C for beta calc
_v_add_lshl_u32 v69, v3, v4, 0x1                   // scaleToBpe: accumulate d0 lower and *= bpe into Cin addr
v_cndmask_b32 v69, -1, v69, s[58:59]               // LDD clip if OOB. offset
/* (d1,vc1,d0,vc0)=(3,2,4,0) */
s_mov_b32 s54, 128                                 // coordOffset0 d0=4 vc0=0
_v_add_co_u32 v4, vcc, v0, s54                     // coord0.2: coord0 += d0*sg0*VW + vc0
v_cmp_lt_u32 s[54:55], v4, s[sgprSizeI]            // coord0 < size0
v_cmp_lt_u32 s[58:59], v1, s[sgprSizeJ]            // coord1 < size1
s_and_b64 s[58:59], s[54:55], s[58:59]             // in0 && in1
_v_add_lshl_u32 v72, v2, v4, 0x1                   // scaleToBpe: accumulate d0 lower and *= bpe into Cin addr
v_cndmask_b32 v72, -1, v72, s[58:59]               // LDC clip if OOB. offset
_buffer_load_d16_b16 v73, v72, s[sgprSrdC:sgprSrdC+3], 0, offen offset:0,  sc0 sc1 // load C for beta calc
_v_add_lshl_u32 v72, v3, v4, 0x1                   // scaleToBpe: accumulate d0 lower and *= bpe into Cin addr
v_cndmask_b32 v72, -1, v72, s[58:59]               // LDD clip if OOB. offset
/* (d1,vc1,d0,vc0)=(3,2,5,0) */
s_mov_b32 s54, 160                                 // coordOffset0 d0=5 vc0=0
	;; [unrolled: 11-line block ×3, first 2 shown]
_v_add_co_u32 v4, vcc, v0, s54                     // coord0.2: coord0 += d0*sg0*VW + vc0
v_cmp_lt_u32 s[54:55], v4, s[sgprSizeI]            // coord0 < size0
v_cmp_lt_u32 s[58:59], v1, s[sgprSizeJ]            // coord1 < size1
s_and_b64 s[58:59], s[54:55], s[58:59]             // in0 && in1
_v_add_lshl_u32 v78, v2, v4, 0x1                   // scaleToBpe: accumulate d0 lower and *= bpe into Cin addr
v_cndmask_b32 v78, -1, v78, s[58:59]               // LDC clip if OOB. offset
_buffer_load_d16_b16 v79, v78, s[sgprSrdC:sgprSrdC+3], 0, offen offset:0,  sc0 sc1 // load C for beta calc
_v_add_lshl_u32 v78, v3, v4, 0x1                   // scaleToBpe: accumulate d0 lower and *= bpe into Cin addr
v_cndmask_b32 v78, -1, v78, s[58:59]               // LDD clip if OOB. offset
/* (d1,vc1,d0,vc0)=(3,3,0,0) */
_v_add_co_u32 v1, vcc, v1, 1                       // coord1.1: coord1Vgpr += d1*sg1*VW + vc1

/* Fix for UseInitialStridesCD, emitAddressSetupCode */
_v_add_u32 v2, v2, s[sgprStrideC1J]                // ROWINC- Move cinRowPtr to next row
_v_add_u32 v3, v3, s[sgprStrideD1J]                // Move coutRowPtr to next row
v_cmp_lt_u32 s[54:55], v0, s[sgprSizeI]            // coord0 < size0
v_cmp_lt_u32 s[58:59], v1, s[sgprSizeJ]            // coord1 < size1
s_and_b64 s[58:59], s[54:55], s[58:59]             // in0 && in1
_v_add_lshl_u32 v81, v2, v0, 0x1                   // scaleToBpe: accumulate d0 lower and *= bpe into Cin addr
v_cndmask_b32 v81, -1, v81, s[58:59]               // LDC clip if OOB. offset
_buffer_load_d16_b16 v82, v81, s[sgprSrdC:sgprSrdC+3], 0, offen offset:0,  sc0 sc1 // load C for beta calc
_v_add_lshl_u32 v81, v3, v0, 0x1                   // scaleToBpe: accumulate d0 lower and *= bpe into Cin addr
v_cndmask_b32 v81, -1, v81, s[58:59]               // LDD clip if OOB. offset
/* (d1,vc1,d0,vc0)=(3,3,1,0) */
_v_add_co_u32 v4, vcc, v0, 32                      // coord0.1: coord0 += d0*sg0*VW + vc0
v_cmp_lt_u32 s[54:55], v4, s[sgprSizeI]            // coord0 < size0
v_cmp_lt_u32 s[58:59], v1, s[sgprSizeJ]            // coord1 < size1
s_and_b64 s[58:59], s[54:55], s[58:59]             // in0 && in1
_v_add_lshl_u32 v84, v2, v4, 0x1                   // scaleToBpe: accumulate d0 lower and *= bpe into Cin addr
v_cndmask_b32 v84, -1, v84, s[58:59]               // LDC clip if OOB. offset
_buffer_load_d16_b16 v85, v84, s[sgprSrdC:sgprSrdC+3], 0, offen offset:0,  sc0 sc1 // load C for beta calc
_v_add_lshl_u32 v84, v3, v4, 0x1                   // scaleToBpe: accumulate d0 lower and *= bpe into Cin addr
v_cndmask_b32 v84, -1, v84, s[58:59]               // LDD clip if OOB. offset
/* (d1,vc1,d0,vc0)=(3,3,2,0) */
_v_add_co_u32 v4, vcc, v0, 64                      // coord0.1: coord0 += d0*sg0*VW + vc0
v_cmp_lt_u32 s[54:55], v4, s[sgprSizeI]            // coord0 < size0
v_cmp_lt_u32 s[58:59], v1, s[sgprSizeJ]            // coord1 < size1
s_and_b64 s[58:59], s[54:55], s[58:59]             // in0 && in1
_v_add_lshl_u32 v87, v2, v4, 0x1                   // scaleToBpe: accumulate d0 lower and *= bpe into Cin addr
v_cndmask_b32 v87, -1, v87, s[58:59]               // LDC clip if OOB. offset
_buffer_load_d16_b16 v88, v87, s[sgprSrdC:sgprSrdC+3], 0, offen offset:0,  sc0 sc1 // load C for beta calc
_v_add_lshl_u32 v87, v3, v4, 0x1                   // scaleToBpe: accumulate d0 lower and *= bpe into Cin addr
v_cndmask_b32 v87, -1, v87, s[58:59]               // LDD clip if OOB. offset
/* (d1,vc1,d0,vc0)=(3,3,3,0) */
s_mov_b32 s54, 96                                  // coordOffset0 d0=3 vc0=0
_v_add_co_u32 v4, vcc, v0, s54                     // coord0.2: coord0 += d0*sg0*VW + vc0
v_cmp_lt_u32 s[54:55], v4, s[sgprSizeI]            // coord0 < size0
v_cmp_lt_u32 s[58:59], v1, s[sgprSizeJ]            // coord1 < size1
s_and_b64 s[58:59], s[54:55], s[58:59]             // in0 && in1
_v_add_lshl_u32 v90, v2, v4, 0x1                   // scaleToBpe: accumulate d0 lower and *= bpe into Cin addr
v_cndmask_b32 v90, -1, v90, s[58:59]               // LDC clip if OOB. offset
_buffer_load_d16_b16 v91, v90, s[sgprSrdC:sgprSrdC+3], 0, offen offset:0,  sc0 sc1 // load C for beta calc
_v_add_lshl_u32 v90, v3, v4, 0x1                   // scaleToBpe: accumulate d0 lower and *= bpe into Cin addr
v_cndmask_b32 v90, -1, v90, s[58:59]               // LDD clip if OOB. offset
/* (d1,vc1,d0,vc0)=(3,3,4,0) */
s_mov_b32 s54, 128                                 // coordOffset0 d0=4 vc0=0
_v_add_co_u32 v4, vcc, v0, s54                     // coord0.2: coord0 += d0*sg0*VW + vc0
v_cmp_lt_u32 s[54:55], v4, s[sgprSizeI]            // coord0 < size0
v_cmp_lt_u32 s[58:59], v1, s[sgprSizeJ]            // coord1 < size1
s_and_b64 s[58:59], s[54:55], s[58:59]             // in0 && in1
_v_add_lshl_u32 v93, v2, v4, 0x1                   // scaleToBpe: accumulate d0 lower and *= bpe into Cin addr
v_cndmask_b32 v93, -1, v93, s[58:59]               // LDC clip if OOB. offset
_buffer_load_d16_b16 v94, v93, s[sgprSrdC:sgprSrdC+3], 0, offen offset:0,  sc0 sc1 // load C for beta calc
_v_add_lshl_u32 v93, v3, v4, 0x1                   // scaleToBpe: accumulate d0 lower and *= bpe into Cin addr
v_cndmask_b32 v93, -1, v93, s[58:59]               // LDD clip if OOB. offset
/* (d1,vc1,d0,vc0)=(3,3,5,0) */
s_mov_b32 s54, 160                                 // coordOffset0 d0=5 vc0=0
	;; [unrolled: 11-line block ×3, first 2 shown]
_v_add_co_u32 v4, vcc, v0, s54                     // coord0.2: coord0 += d0*sg0*VW + vc0
v_cmp_lt_u32 s[54:55], v4, s[sgprSizeI]            // coord0 < size0
v_cmp_lt_u32 s[58:59], v1, s[sgprSizeJ]            // coord1 < size1
s_and_b64 s[58:59], s[54:55], s[58:59]             // in0 && in1
_v_add_lshl_u32 v99, v2, v4, 0x1                   // scaleToBpe: accumulate d0 lower and *= bpe into Cin addr
v_cndmask_b32 v99, -1, v99, s[58:59]               // LDC clip if OOB. offset
_buffer_load_d16_b16 v100, v99, s[sgprSrdC:sgprSrdC+3], 0, offen offset:0,  sc0 sc1 // load C for beta calc
_v_add_lshl_u32 v99, v3, v4, 0x1                   // scaleToBpe: accumulate d0 lower and *= bpe into Cin addr
v_cndmask_b32 v99, -1, v99, s[58:59]               // LDD clip if OOB. offset
/* (d1,vc1,d0,vc0)=(4,0,0,0) */
_v_add_co_u32 v1, vcc, v1, 29                      // coord1.1: coord1Vgpr += d1*sg1*VW + vc1

/* Fix for UseInitialStridesCD, emitAddressSetupCode */
s_mul_i32 s54, s[sgprStrideC1J], 29                // scale stride
_v_add_u32 v2, v2, s54                             // ROWINC- Move cinRowPtr to next row
s_mul_i32 s54, s[sgprStrideD1J], 29                // scale stride
_v_add_u32 v3, v3, s54                             // Move coutRowPtr to next row
v_cmp_lt_u32 s[54:55], v0, s[sgprSizeI]            // coord0 < size0
v_cmp_lt_u32 s[58:59], v1, s[sgprSizeJ]            // coord1 < size1
s_and_b64 s[58:59], s[54:55], s[58:59]             // in0 && in1
_v_add_lshl_u32 v102, v2, v0, 0x1                  // scaleToBpe: accumulate d0 lower and *= bpe into Cin addr
v_cndmask_b32 v102, -1, v102, s[58:59]             // LDC clip if OOB. offset
_buffer_load_d16_b16 v103, v102, s[sgprSrdC:sgprSrdC+3], 0, offen offset:0,  sc0 sc1 // load C for beta calc
_v_add_lshl_u32 v102, v3, v0, 0x1                  // scaleToBpe: accumulate d0 lower and *= bpe into Cin addr
v_cndmask_b32 v102, -1, v102, s[58:59]             // LDD clip if OOB. offset
/* (d1,vc1,d0,vc0)=(4,0,1,0) */
_v_add_co_u32 v4, vcc, v0, 32                      // coord0.1: coord0 += d0*sg0*VW + vc0
v_cmp_lt_u32 s[54:55], v4, s[sgprSizeI]            // coord0 < size0
v_cmp_lt_u32 s[58:59], v1, s[sgprSizeJ]            // coord1 < size1
s_and_b64 s[58:59], s[54:55], s[58:59]             // in0 && in1
_v_add_lshl_u32 v105, v2, v4, 0x1                  // scaleToBpe: accumulate d0 lower and *= bpe into Cin addr
v_cndmask_b32 v105, -1, v105, s[58:59]             // LDC clip if OOB. offset
_buffer_load_d16_b16 v106, v105, s[sgprSrdC:sgprSrdC+3], 0, offen offset:0,  sc0 sc1 // load C for beta calc
_v_add_lshl_u32 v105, v3, v4, 0x1                  // scaleToBpe: accumulate d0 lower and *= bpe into Cin addr
v_cndmask_b32 v105, -1, v105, s[58:59]             // LDD clip if OOB. offset
/* (d1,vc1,d0,vc0)=(4,0,2,0) */
_v_add_co_u32 v4, vcc, v0, 64                      // coord0.1: coord0 += d0*sg0*VW + vc0
v_cmp_lt_u32 s[54:55], v4, s[sgprSizeI]            // coord0 < size0
v_cmp_lt_u32 s[58:59], v1, s[sgprSizeJ]            // coord1 < size1
s_and_b64 s[58:59], s[54:55], s[58:59]             // in0 && in1
_v_add_lshl_u32 v108, v2, v4, 0x1                  // scaleToBpe: accumulate d0 lower and *= bpe into Cin addr
v_cndmask_b32 v108, -1, v108, s[58:59]             // LDC clip if OOB. offset
_buffer_load_d16_b16 v109, v108, s[sgprSrdC:sgprSrdC+3], 0, offen offset:0,  sc0 sc1 // load C for beta calc
_v_add_lshl_u32 v108, v3, v4, 0x1                  // scaleToBpe: accumulate d0 lower and *= bpe into Cin addr
v_cndmask_b32 v108, -1, v108, s[58:59]             // LDD clip if OOB. offset
/* (d1,vc1,d0,vc0)=(4,0,3,0) */
s_mov_b32 s54, 96                                  // coordOffset0 d0=3 vc0=0
_v_add_co_u32 v4, vcc, v0, s54                     // coord0.2: coord0 += d0*sg0*VW + vc0
v_cmp_lt_u32 s[54:55], v4, s[sgprSizeI]            // coord0 < size0
v_cmp_lt_u32 s[58:59], v1, s[sgprSizeJ]            // coord1 < size1
s_and_b64 s[58:59], s[54:55], s[58:59]             // in0 && in1
_v_add_lshl_u32 v111, v2, v4, 0x1                  // scaleToBpe: accumulate d0 lower and *= bpe into Cin addr
v_cndmask_b32 v111, -1, v111, s[58:59]             // LDC clip if OOB. offset
_buffer_load_d16_b16 v112, v111, s[sgprSrdC:sgprSrdC+3], 0, offen offset:0,  sc0 sc1 // load C for beta calc
_v_add_lshl_u32 v111, v3, v4, 0x1                  // scaleToBpe: accumulate d0 lower and *= bpe into Cin addr
v_cndmask_b32 v111, -1, v111, s[58:59]             // LDD clip if OOB. offset
/* (d1,vc1,d0,vc0)=(4,0,4,0) */
s_mov_b32 s54, 128                                 // coordOffset0 d0=4 vc0=0
_v_add_co_u32 v4, vcc, v0, s54                     // coord0.2: coord0 += d0*sg0*VW + vc0
v_cmp_lt_u32 s[54:55], v4, s[sgprSizeI]            // coord0 < size0
v_cmp_lt_u32 s[58:59], v1, s[sgprSizeJ]            // coord1 < size1
s_and_b64 s[58:59], s[54:55], s[58:59]             // in0 && in1
_v_add_lshl_u32 v114, v2, v4, 0x1                  // scaleToBpe: accumulate d0 lower and *= bpe into Cin addr
v_cndmask_b32 v114, -1, v114, s[58:59]             // LDC clip if OOB. offset
_buffer_load_d16_b16 v115, v114, s[sgprSrdC:sgprSrdC+3], 0, offen offset:0,  sc0 sc1 // load C for beta calc
_v_add_lshl_u32 v114, v3, v4, 0x1                  // scaleToBpe: accumulate d0 lower and *= bpe into Cin addr
v_cndmask_b32 v114, -1, v114, s[58:59]             // LDD clip if OOB. offset
/* (d1,vc1,d0,vc0)=(4,0,5,0) */
s_mov_b32 s54, 160                                 // coordOffset0 d0=5 vc0=0
	;; [unrolled: 11-line block ×3, first 2 shown]
_v_add_co_u32 v4, vcc, v0, s54                     // coord0.2: coord0 += d0*sg0*VW + vc0
v_cmp_lt_u32 s[54:55], v4, s[sgprSizeI]            // coord0 < size0
v_cmp_lt_u32 s[58:59], v1, s[sgprSizeJ]            // coord1 < size1
s_and_b64 s[58:59], s[54:55], s[58:59]             // in0 && in1
_v_add_lshl_u32 v120, v2, v4, 0x1                  // scaleToBpe: accumulate d0 lower and *= bpe into Cin addr
v_cndmask_b32 v120, -1, v120, s[58:59]             // LDC clip if OOB. offset
_buffer_load_d16_b16 v121, v120, s[sgprSrdC:sgprSrdC+3], 0, offen offset:0,  sc0 sc1 // load C for beta calc
_v_add_lshl_u32 v120, v3, v4, 0x1                  // scaleToBpe: accumulate d0 lower and *= bpe into Cin addr
v_cndmask_b32 v120, -1, v120, s[58:59]             // LDD clip if OOB. offset
/* (d1,vc1,d0,vc0)=(4,1,0,0) */
_v_add_co_u32 v1, vcc, v1, 1                       // coord1.1: coord1Vgpr += d1*sg1*VW + vc1

/* Fix for UseInitialStridesCD, emitAddressSetupCode */
_v_add_u32 v2, v2, s[sgprStrideC1J]                // ROWINC- Move cinRowPtr to next row
_v_add_u32 v3, v3, s[sgprStrideD1J]                // Move coutRowPtr to next row
v_cmp_lt_u32 s[54:55], v0, s[sgprSizeI]            // coord0 < size0
v_cmp_lt_u32 s[58:59], v1, s[sgprSizeJ]            // coord1 < size1
s_and_b64 s[58:59], s[54:55], s[58:59]             // in0 && in1
_v_add_lshl_u32 v123, v2, v0, 0x1                  // scaleToBpe: accumulate d0 lower and *= bpe into Cin addr
v_cndmask_b32 v123, -1, v123, s[58:59]             // LDC clip if OOB. offset
_buffer_load_d16_b16 v124, v123, s[sgprSrdC:sgprSrdC+3], 0, offen offset:0,  sc0 sc1 // load C for beta calc
_v_add_lshl_u32 v123, v3, v0, 0x1                  // scaleToBpe: accumulate d0 lower and *= bpe into Cin addr
v_cndmask_b32 v123, -1, v123, s[58:59]             // LDD clip if OOB. offset
/* (d1,vc1,d0,vc0)=(4,1,1,0) */
_v_add_co_u32 v4, vcc, v0, 32                      // coord0.1: coord0 += d0*sg0*VW + vc0
v_cmp_lt_u32 s[54:55], v4, s[sgprSizeI]            // coord0 < size0
v_cmp_lt_u32 s[58:59], v1, s[sgprSizeJ]            // coord1 < size1
s_and_b64 s[58:59], s[54:55], s[58:59]             // in0 && in1
_v_add_lshl_u32 v126, v2, v4, 0x1                  // scaleToBpe: accumulate d0 lower and *= bpe into Cin addr
v_cndmask_b32 v126, -1, v126, s[58:59]             // LDC clip if OOB. offset
_buffer_load_d16_b16 v127, v126, s[sgprSrdC:sgprSrdC+3], 0, offen offset:0,  sc0 sc1 // load C for beta calc
_v_add_lshl_u32 v126, v3, v4, 0x1                  // scaleToBpe: accumulate d0 lower and *= bpe into Cin addr
v_cndmask_b32 v126, -1, v126, s[58:59]             // LDD clip if OOB. offset
/* (d1,vc1,d0,vc0)=(4,1,2,0) */
_v_add_co_u32 v4, vcc, v0, 64                      // coord0.1: coord0 += d0*sg0*VW + vc0
v_cmp_lt_u32 s[54:55], v4, s[sgprSizeI]            // coord0 < size0
v_cmp_lt_u32 s[58:59], v1, s[sgprSizeJ]            // coord1 < size1
s_and_b64 s[58:59], s[54:55], s[58:59]             // in0 && in1
_v_add_lshl_u32 v129, v2, v4, 0x1                  // scaleToBpe: accumulate d0 lower and *= bpe into Cin addr
v_cndmask_b32 v129, -1, v129, s[58:59]             // LDC clip if OOB. offset
_buffer_load_d16_b16 v130, v129, s[sgprSrdC:sgprSrdC+3], 0, offen offset:0,  sc0 sc1 // load C for beta calc
_v_add_lshl_u32 v129, v3, v4, 0x1                  // scaleToBpe: accumulate d0 lower and *= bpe into Cin addr
v_cndmask_b32 v129, -1, v129, s[58:59]             // LDD clip if OOB. offset
/* (d1,vc1,d0,vc0)=(4,1,3,0) */
s_mov_b32 s54, 96                                  // coordOffset0 d0=3 vc0=0
_v_add_co_u32 v4, vcc, v0, s54                     // coord0.2: coord0 += d0*sg0*VW + vc0
v_cmp_lt_u32 s[54:55], v4, s[sgprSizeI]            // coord0 < size0
v_cmp_lt_u32 s[58:59], v1, s[sgprSizeJ]            // coord1 < size1
s_and_b64 s[58:59], s[54:55], s[58:59]             // in0 && in1
_v_add_lshl_u32 v132, v2, v4, 0x1                  // scaleToBpe: accumulate d0 lower and *= bpe into Cin addr
v_cndmask_b32 v132, -1, v132, s[58:59]             // LDC clip if OOB. offset
_buffer_load_d16_b16 v133, v132, s[sgprSrdC:sgprSrdC+3], 0, offen offset:0,  sc0 sc1 // load C for beta calc
_v_add_lshl_u32 v132, v3, v4, 0x1                  // scaleToBpe: accumulate d0 lower and *= bpe into Cin addr
v_cndmask_b32 v132, -1, v132, s[58:59]             // LDD clip if OOB. offset
/* (d1,vc1,d0,vc0)=(4,1,4,0) */
s_mov_b32 s54, 128                                 // coordOffset0 d0=4 vc0=0
_v_add_co_u32 v4, vcc, v0, s54                     // coord0.2: coord0 += d0*sg0*VW + vc0
v_cmp_lt_u32 s[54:55], v4, s[sgprSizeI]            // coord0 < size0
v_cmp_lt_u32 s[58:59], v1, s[sgprSizeJ]            // coord1 < size1
s_and_b64 s[58:59], s[54:55], s[58:59]             // in0 && in1
_v_add_lshl_u32 v135, v2, v4, 0x1                  // scaleToBpe: accumulate d0 lower and *= bpe into Cin addr
v_cndmask_b32 v135, -1, v135, s[58:59]             // LDC clip if OOB. offset
_buffer_load_d16_b16 v136, v135, s[sgprSrdC:sgprSrdC+3], 0, offen offset:0,  sc0 sc1 // load C for beta calc
_v_add_lshl_u32 v135, v3, v4, 0x1                  // scaleToBpe: accumulate d0 lower and *= bpe into Cin addr
v_cndmask_b32 v135, -1, v135, s[58:59]             // LDD clip if OOB. offset
/* (d1,vc1,d0,vc0)=(4,1,5,0) */
s_mov_b32 s54, 160                                 // coordOffset0 d0=5 vc0=0
	;; [unrolled: 11-line block ×3, first 2 shown]
_v_add_co_u32 v4, vcc, v0, s54                     // coord0.2: coord0 += d0*sg0*VW + vc0
v_cmp_lt_u32 s[54:55], v4, s[sgprSizeI]            // coord0 < size0
v_cmp_lt_u32 s[58:59], v1, s[sgprSizeJ]            // coord1 < size1
s_and_b64 s[58:59], s[54:55], s[58:59]             // in0 && in1
_v_add_lshl_u32 v141, v2, v4, 0x1                  // scaleToBpe: accumulate d0 lower and *= bpe into Cin addr
v_cndmask_b32 v141, -1, v141, s[58:59]             // LDC clip if OOB. offset
_buffer_load_d16_b16 v142, v141, s[sgprSrdC:sgprSrdC+3], 0, offen offset:0,  sc0 sc1 // load C for beta calc
_v_add_lshl_u32 v141, v3, v4, 0x1                  // scaleToBpe: accumulate d0 lower and *= bpe into Cin addr
v_cndmask_b32 v141, -1, v141, s[58:59]             // LDD clip if OOB. offset
/* (d1,vc1,d0,vc0)=(4,2,0,0) */
_v_add_co_u32 v1, vcc, v1, 1                       // coord1.1: coord1Vgpr += d1*sg1*VW + vc1

/* Fix for UseInitialStridesCD, emitAddressSetupCode */
_v_add_u32 v2, v2, s[sgprStrideC1J]                // ROWINC- Move cinRowPtr to next row
_v_add_u32 v3, v3, s[sgprStrideD1J]                // Move coutRowPtr to next row
v_cmp_lt_u32 s[54:55], v0, s[sgprSizeI]            // coord0 < size0
v_cmp_lt_u32 s[58:59], v1, s[sgprSizeJ]            // coord1 < size1
s_and_b64 s[58:59], s[54:55], s[58:59]             // in0 && in1
_v_add_lshl_u32 v144, v2, v0, 0x1                  // scaleToBpe: accumulate d0 lower and *= bpe into Cin addr
v_cndmask_b32 v144, -1, v144, s[58:59]             // LDC clip if OOB. offset
_buffer_load_d16_b16 v145, v144, s[sgprSrdC:sgprSrdC+3], 0, offen offset:0,  sc0 sc1 // load C for beta calc
_v_add_lshl_u32 v144, v3, v0, 0x1                  // scaleToBpe: accumulate d0 lower and *= bpe into Cin addr
v_cndmask_b32 v144, -1, v144, s[58:59]             // LDD clip if OOB. offset
/* (d1,vc1,d0,vc0)=(4,2,1,0) */
_v_add_co_u32 v4, vcc, v0, 32                      // coord0.1: coord0 += d0*sg0*VW + vc0
v_cmp_lt_u32 s[54:55], v4, s[sgprSizeI]            // coord0 < size0
v_cmp_lt_u32 s[58:59], v1, s[sgprSizeJ]            // coord1 < size1
s_and_b64 s[58:59], s[54:55], s[58:59]             // in0 && in1
_v_add_lshl_u32 v147, v2, v4, 0x1                  // scaleToBpe: accumulate d0 lower and *= bpe into Cin addr
v_cndmask_b32 v147, -1, v147, s[58:59]             // LDC clip if OOB. offset
_buffer_load_d16_b16 v148, v147, s[sgprSrdC:sgprSrdC+3], 0, offen offset:0,  sc0 sc1 // load C for beta calc
_v_add_lshl_u32 v147, v3, v4, 0x1                  // scaleToBpe: accumulate d0 lower and *= bpe into Cin addr
v_cndmask_b32 v147, -1, v147, s[58:59]             // LDD clip if OOB. offset
/* (d1,vc1,d0,vc0)=(4,2,2,0) */
_v_add_co_u32 v4, vcc, v0, 64                      // coord0.1: coord0 += d0*sg0*VW + vc0
v_cmp_lt_u32 s[54:55], v4, s[sgprSizeI]            // coord0 < size0
v_cmp_lt_u32 s[58:59], v1, s[sgprSizeJ]            // coord1 < size1
s_and_b64 s[58:59], s[54:55], s[58:59]             // in0 && in1
_v_add_lshl_u32 v150, v2, v4, 0x1                  // scaleToBpe: accumulate d0 lower and *= bpe into Cin addr
v_cndmask_b32 v150, -1, v150, s[58:59]             // LDC clip if OOB. offset
_buffer_load_d16_b16 v151, v150, s[sgprSrdC:sgprSrdC+3], 0, offen offset:0,  sc0 sc1 // load C for beta calc
_v_add_lshl_u32 v150, v3, v4, 0x1                  // scaleToBpe: accumulate d0 lower and *= bpe into Cin addr
v_cndmask_b32 v150, -1, v150, s[58:59]             // LDD clip if OOB. offset
/* (d1,vc1,d0,vc0)=(4,2,3,0) */
s_mov_b32 s54, 96                                  // coordOffset0 d0=3 vc0=0
_v_add_co_u32 v4, vcc, v0, s54                     // coord0.2: coord0 += d0*sg0*VW + vc0
v_cmp_lt_u32 s[54:55], v4, s[sgprSizeI]            // coord0 < size0
v_cmp_lt_u32 s[58:59], v1, s[sgprSizeJ]            // coord1 < size1
s_and_b64 s[58:59], s[54:55], s[58:59]             // in0 && in1
_v_add_lshl_u32 v153, v2, v4, 0x1                  // scaleToBpe: accumulate d0 lower and *= bpe into Cin addr
v_cndmask_b32 v153, -1, v153, s[58:59]             // LDC clip if OOB. offset
_buffer_load_d16_b16 v154, v153, s[sgprSrdC:sgprSrdC+3], 0, offen offset:0,  sc0 sc1 // load C for beta calc
_v_add_lshl_u32 v153, v3, v4, 0x1                  // scaleToBpe: accumulate d0 lower and *= bpe into Cin addr
v_cndmask_b32 v153, -1, v153, s[58:59]             // LDD clip if OOB. offset
/* (d1,vc1,d0,vc0)=(4,2,4,0) */
s_mov_b32 s54, 128                                 // coordOffset0 d0=4 vc0=0
_v_add_co_u32 v4, vcc, v0, s54                     // coord0.2: coord0 += d0*sg0*VW + vc0
v_cmp_lt_u32 s[54:55], v4, s[sgprSizeI]            // coord0 < size0
v_cmp_lt_u32 s[58:59], v1, s[sgprSizeJ]            // coord1 < size1
s_and_b64 s[58:59], s[54:55], s[58:59]             // in0 && in1
_v_add_lshl_u32 v156, v2, v4, 0x1                  // scaleToBpe: accumulate d0 lower and *= bpe into Cin addr
v_cndmask_b32 v156, -1, v156, s[58:59]             // LDC clip if OOB. offset
_buffer_load_d16_b16 v157, v156, s[sgprSrdC:sgprSrdC+3], 0, offen offset:0,  sc0 sc1 // load C for beta calc
_v_add_lshl_u32 v156, v3, v4, 0x1                  // scaleToBpe: accumulate d0 lower and *= bpe into Cin addr
v_cndmask_b32 v156, -1, v156, s[58:59]             // LDD clip if OOB. offset
/* (d1,vc1,d0,vc0)=(4,2,5,0) */
s_mov_b32 s54, 160                                 // coordOffset0 d0=5 vc0=0
	;; [unrolled: 11-line block ×3, first 2 shown]
_v_add_co_u32 v4, vcc, v0, s54                     // coord0.2: coord0 += d0*sg0*VW + vc0
v_cmp_lt_u32 s[54:55], v4, s[sgprSizeI]            // coord0 < size0
v_cmp_lt_u32 s[58:59], v1, s[sgprSizeJ]            // coord1 < size1
s_and_b64 s[58:59], s[54:55], s[58:59]             // in0 && in1
_v_add_lshl_u32 v162, v2, v4, 0x1                  // scaleToBpe: accumulate d0 lower and *= bpe into Cin addr
v_cndmask_b32 v162, -1, v162, s[58:59]             // LDC clip if OOB. offset
_buffer_load_d16_b16 v163, v162, s[sgprSrdC:sgprSrdC+3], 0, offen offset:0,  sc0 sc1 // load C for beta calc
_v_add_lshl_u32 v162, v3, v4, 0x1                  // scaleToBpe: accumulate d0 lower and *= bpe into Cin addr
v_cndmask_b32 v162, -1, v162, s[58:59]             // LDD clip if OOB. offset
/* (d1,vc1,d0,vc0)=(4,3,0,0) */
_v_add_co_u32 v1, vcc, v1, 1                       // coord1.1: coord1Vgpr += d1*sg1*VW + vc1

/* Fix for UseInitialStridesCD, emitAddressSetupCode */
_v_add_u32 v2, v2, s[sgprStrideC1J]                // ROWINC- Move cinRowPtr to next row
_v_add_u32 v3, v3, s[sgprStrideD1J]                // Move coutRowPtr to next row
v_cmp_lt_u32 s[54:55], v0, s[sgprSizeI]            // coord0 < size0
v_cmp_lt_u32 s[58:59], v1, s[sgprSizeJ]            // coord1 < size1
s_and_b64 s[58:59], s[54:55], s[58:59]             // in0 && in1
_v_add_lshl_u32 v165, v2, v0, 0x1                  // scaleToBpe: accumulate d0 lower and *= bpe into Cin addr
v_cndmask_b32 v165, -1, v165, s[58:59]             // LDC clip if OOB. offset
_buffer_load_d16_b16 v166, v165, s[sgprSrdC:sgprSrdC+3], 0, offen offset:0,  sc0 sc1 // load C for beta calc
_v_add_lshl_u32 v165, v3, v0, 0x1                  // scaleToBpe: accumulate d0 lower and *= bpe into Cin addr
v_cndmask_b32 v165, -1, v165, s[58:59]             // LDD clip if OOB. offset
/* (d1,vc1,d0,vc0)=(4,3,1,0) */
_v_add_co_u32 v4, vcc, v0, 32                      // coord0.1: coord0 += d0*sg0*VW + vc0
v_cmp_lt_u32 s[54:55], v4, s[sgprSizeI]            // coord0 < size0
v_cmp_lt_u32 s[58:59], v1, s[sgprSizeJ]            // coord1 < size1
s_and_b64 s[58:59], s[54:55], s[58:59]             // in0 && in1
_v_add_lshl_u32 v168, v2, v4, 0x1                  // scaleToBpe: accumulate d0 lower and *= bpe into Cin addr
v_cndmask_b32 v168, -1, v168, s[58:59]             // LDC clip if OOB. offset
_buffer_load_d16_b16 v169, v168, s[sgprSrdC:sgprSrdC+3], 0, offen offset:0,  sc0 sc1 // load C for beta calc
_v_add_lshl_u32 v168, v3, v4, 0x1                  // scaleToBpe: accumulate d0 lower and *= bpe into Cin addr
v_cndmask_b32 v168, -1, v168, s[58:59]             // LDD clip if OOB. offset
/* (d1,vc1,d0,vc0)=(4,3,2,0) */
_v_add_co_u32 v4, vcc, v0, 64                      // coord0.1: coord0 += d0*sg0*VW + vc0
v_cmp_lt_u32 s[54:55], v4, s[sgprSizeI]            // coord0 < size0
v_cmp_lt_u32 s[58:59], v1, s[sgprSizeJ]            // coord1 < size1
s_and_b64 s[58:59], s[54:55], s[58:59]             // in0 && in1
_v_add_lshl_u32 v171, v2, v4, 0x1                  // scaleToBpe: accumulate d0 lower and *= bpe into Cin addr
v_cndmask_b32 v171, -1, v171, s[58:59]             // LDC clip if OOB. offset
_buffer_load_d16_b16 v172, v171, s[sgprSrdC:sgprSrdC+3], 0, offen offset:0,  sc0 sc1 // load C for beta calc
_v_add_lshl_u32 v171, v3, v4, 0x1                  // scaleToBpe: accumulate d0 lower and *= bpe into Cin addr
v_cndmask_b32 v171, -1, v171, s[58:59]             // LDD clip if OOB. offset
/* (d1,vc1,d0,vc0)=(4,3,3,0) */
s_mov_b32 s54, 96                                  // coordOffset0 d0=3 vc0=0
_v_add_co_u32 v4, vcc, v0, s54                     // coord0.2: coord0 += d0*sg0*VW + vc0
v_cmp_lt_u32 s[54:55], v4, s[sgprSizeI]            // coord0 < size0
v_cmp_lt_u32 s[58:59], v1, s[sgprSizeJ]            // coord1 < size1
s_and_b64 s[58:59], s[54:55], s[58:59]             // in0 && in1
_v_add_lshl_u32 v174, v2, v4, 0x1                  // scaleToBpe: accumulate d0 lower and *= bpe into Cin addr
v_cndmask_b32 v174, -1, v174, s[58:59]             // LDC clip if OOB. offset
_buffer_load_d16_b16 v175, v174, s[sgprSrdC:sgprSrdC+3], 0, offen offset:0,  sc0 sc1 // load C for beta calc
_v_add_lshl_u32 v174, v3, v4, 0x1                  // scaleToBpe: accumulate d0 lower and *= bpe into Cin addr
v_cndmask_b32 v174, -1, v174, s[58:59]             // LDD clip if OOB. offset
/* (d1,vc1,d0,vc0)=(4,3,4,0) */
s_mov_b32 s54, 128                                 // coordOffset0 d0=4 vc0=0
_v_add_co_u32 v4, vcc, v0, s54                     // coord0.2: coord0 += d0*sg0*VW + vc0
v_cmp_lt_u32 s[54:55], v4, s[sgprSizeI]            // coord0 < size0
v_cmp_lt_u32 s[58:59], v1, s[sgprSizeJ]            // coord1 < size1
s_and_b64 s[58:59], s[54:55], s[58:59]             // in0 && in1
_v_add_lshl_u32 v177, v2, v4, 0x1                  // scaleToBpe: accumulate d0 lower and *= bpe into Cin addr
v_cndmask_b32 v177, -1, v177, s[58:59]             // LDC clip if OOB. offset
_buffer_load_d16_b16 v178, v177, s[sgprSrdC:sgprSrdC+3], 0, offen offset:0,  sc0 sc1 // load C for beta calc
_v_add_lshl_u32 v177, v3, v4, 0x1                  // scaleToBpe: accumulate d0 lower and *= bpe into Cin addr
v_cndmask_b32 v177, -1, v177, s[58:59]             // LDD clip if OOB. offset
/* (d1,vc1,d0,vc0)=(4,3,5,0) */
s_mov_b32 s54, 160                                 // coordOffset0 d0=5 vc0=0
	;; [unrolled: 11-line block ×3, first 2 shown]
_v_add_co_u32 v4, vcc, v0, s54                     // coord0.2: coord0 += d0*sg0*VW + vc0
v_cmp_lt_u32 s[54:55], v4, s[sgprSizeI]            // coord0 < size0
v_cmp_lt_u32 s[58:59], v1, s[sgprSizeJ]            // coord1 < size1
s_and_b64 s[58:59], s[54:55], s[58:59]             // in0 && in1
_v_add_lshl_u32 v183, v2, v4, 0x1                  // scaleToBpe: accumulate d0 lower and *= bpe into Cin addr
v_cndmask_b32 v183, -1, v183, s[58:59]             // LDC clip if OOB. offset
_buffer_load_d16_b16 v184, v183, s[sgprSrdC:sgprSrdC+3], 0, offen offset:0,  sc0 sc1 // load C for beta calc
_v_add_lshl_u32 v183, v3, v4, 0x1                  // scaleToBpe: accumulate d0 lower and *= bpe into Cin addr
v_cndmask_b32 v183, -1, v183, s[58:59]             // LDD clip if OOB. offset
/* (d1,vc1,d0,vc0)=(5,0,0,0) */
_v_add_co_u32 v1, vcc, v1, 29                      // coord1.1: coord1Vgpr += d1*sg1*VW + vc1

/* Fix for UseInitialStridesCD, emitAddressSetupCode */
s_mul_i32 s54, s[sgprStrideC1J], 29                // scale stride
_v_add_u32 v2, v2, s54                             // ROWINC- Move cinRowPtr to next row
s_mul_i32 s54, s[sgprStrideD1J], 29                // scale stride
_v_add_u32 v3, v3, s54                             // Move coutRowPtr to next row
v_cmp_lt_u32 s[54:55], v0, s[sgprSizeI]            // coord0 < size0
v_cmp_lt_u32 s[58:59], v1, s[sgprSizeJ]            // coord1 < size1
s_and_b64 s[58:59], s[54:55], s[58:59]             // in0 && in1
_v_add_lshl_u32 v186, v2, v0, 0x1                  // scaleToBpe: accumulate d0 lower and *= bpe into Cin addr
v_cndmask_b32 v186, -1, v186, s[58:59]             // LDC clip if OOB. offset
_buffer_load_d16_b16 v187, v186, s[sgprSrdC:sgprSrdC+3], 0, offen offset:0,  sc0 sc1 // load C for beta calc
_v_add_lshl_u32 v186, v3, v0, 0x1                  // scaleToBpe: accumulate d0 lower and *= bpe into Cin addr
v_cndmask_b32 v186, -1, v186, s[58:59]             // LDD clip if OOB. offset
/* (d1,vc1,d0,vc0)=(5,0,1,0) */
_v_add_co_u32 v4, vcc, v0, 32                      // coord0.1: coord0 += d0*sg0*VW + vc0
v_cmp_lt_u32 s[54:55], v4, s[sgprSizeI]            // coord0 < size0
v_cmp_lt_u32 s[58:59], v1, s[sgprSizeJ]            // coord1 < size1
s_and_b64 s[58:59], s[54:55], s[58:59]             // in0 && in1
_v_add_lshl_u32 v189, v2, v4, 0x1                  // scaleToBpe: accumulate d0 lower and *= bpe into Cin addr
v_cndmask_b32 v189, -1, v189, s[58:59]             // LDC clip if OOB. offset
_buffer_load_d16_b16 v190, v189, s[sgprSrdC:sgprSrdC+3], 0, offen offset:0,  sc0 sc1 // load C for beta calc
_v_add_lshl_u32 v189, v3, v4, 0x1                  // scaleToBpe: accumulate d0 lower and *= bpe into Cin addr
v_cndmask_b32 v189, -1, v189, s[58:59]             // LDD clip if OOB. offset
/* (d1,vc1,d0,vc0)=(5,0,2,0) */
_v_add_co_u32 v4, vcc, v0, 64                      // coord0.1: coord0 += d0*sg0*VW + vc0
v_cmp_lt_u32 s[54:55], v4, s[sgprSizeI]            // coord0 < size0
v_cmp_lt_u32 s[58:59], v1, s[sgprSizeJ]            // coord1 < size1
s_and_b64 s[58:59], s[54:55], s[58:59]             // in0 && in1
_v_add_lshl_u32 v192, v2, v4, 0x1                  // scaleToBpe: accumulate d0 lower and *= bpe into Cin addr
v_cndmask_b32 v192, -1, v192, s[58:59]             // LDC clip if OOB. offset
_buffer_load_d16_b16 v193, v192, s[sgprSrdC:sgprSrdC+3], 0, offen offset:0,  sc0 sc1 // load C for beta calc
_v_add_lshl_u32 v192, v3, v4, 0x1                  // scaleToBpe: accumulate d0 lower and *= bpe into Cin addr
v_cndmask_b32 v192, -1, v192, s[58:59]             // LDD clip if OOB. offset
/* (d1,vc1,d0,vc0)=(5,0,3,0) */
s_mov_b32 s54, 96                                  // coordOffset0 d0=3 vc0=0
_v_add_co_u32 v4, vcc, v0, s54                     // coord0.2: coord0 += d0*sg0*VW + vc0
v_cmp_lt_u32 s[54:55], v4, s[sgprSizeI]            // coord0 < size0
v_cmp_lt_u32 s[58:59], v1, s[sgprSizeJ]            // coord1 < size1
s_and_b64 s[58:59], s[54:55], s[58:59]             // in0 && in1
_v_add_lshl_u32 v195, v2, v4, 0x1                  // scaleToBpe: accumulate d0 lower and *= bpe into Cin addr
v_cndmask_b32 v195, -1, v195, s[58:59]             // LDC clip if OOB. offset
_buffer_load_d16_b16 v196, v195, s[sgprSrdC:sgprSrdC+3], 0, offen offset:0,  sc0 sc1 // load C for beta calc
_v_add_lshl_u32 v195, v3, v4, 0x1                  // scaleToBpe: accumulate d0 lower and *= bpe into Cin addr
v_cndmask_b32 v195, -1, v195, s[58:59]             // LDD clip if OOB. offset
/* (d1,vc1,d0,vc0)=(5,0,4,0) */
s_mov_b32 s54, 128                                 // coordOffset0 d0=4 vc0=0
_v_add_co_u32 v4, vcc, v0, s54                     // coord0.2: coord0 += d0*sg0*VW + vc0
v_cmp_lt_u32 s[54:55], v4, s[sgprSizeI]            // coord0 < size0
v_cmp_lt_u32 s[58:59], v1, s[sgprSizeJ]            // coord1 < size1
s_and_b64 s[58:59], s[54:55], s[58:59]             // in0 && in1
_v_add_lshl_u32 v198, v2, v4, 0x1                  // scaleToBpe: accumulate d0 lower and *= bpe into Cin addr
v_cndmask_b32 v198, -1, v198, s[58:59]             // LDC clip if OOB. offset
_buffer_load_d16_b16 v199, v198, s[sgprSrdC:sgprSrdC+3], 0, offen offset:0,  sc0 sc1 // load C for beta calc
_v_add_lshl_u32 v198, v3, v4, 0x1                  // scaleToBpe: accumulate d0 lower and *= bpe into Cin addr
v_cndmask_b32 v198, -1, v198, s[58:59]             // LDD clip if OOB. offset
/* (d1,vc1,d0,vc0)=(5,0,5,0) */
s_mov_b32 s54, 160                                 // coordOffset0 d0=5 vc0=0
	;; [unrolled: 11-line block ×3, first 2 shown]
_v_add_co_u32 v4, vcc, v0, s54                     // coord0.2: coord0 += d0*sg0*VW + vc0
v_cmp_lt_u32 s[54:55], v4, s[sgprSizeI]            // coord0 < size0
v_cmp_lt_u32 s[58:59], v1, s[sgprSizeJ]            // coord1 < size1
s_and_b64 s[58:59], s[54:55], s[58:59]             // in0 && in1
_v_add_lshl_u32 v204, v2, v4, 0x1                  // scaleToBpe: accumulate d0 lower and *= bpe into Cin addr
v_cndmask_b32 v204, -1, v204, s[58:59]             // LDC clip if OOB. offset
_buffer_load_d16_b16 v205, v204, s[sgprSrdC:sgprSrdC+3], 0, offen offset:0,  sc0 sc1 // load C for beta calc
_v_add_lshl_u32 v204, v3, v4, 0x1                  // scaleToBpe: accumulate d0 lower and *= bpe into Cin addr
v_cndmask_b32 v204, -1, v204, s[58:59]             // LDD clip if OOB. offset
/* (d1,vc1,d0,vc0)=(5,1,0,0) */
_v_add_co_u32 v1, vcc, v1, 1                       // coord1.1: coord1Vgpr += d1*sg1*VW + vc1

/* Fix for UseInitialStridesCD, emitAddressSetupCode */
_v_add_u32 v2, v2, s[sgprStrideC1J]                // ROWINC- Move cinRowPtr to next row
_v_add_u32 v3, v3, s[sgprStrideD1J]                // Move coutRowPtr to next row
v_cmp_lt_u32 s[54:55], v0, s[sgprSizeI]            // coord0 < size0
v_cmp_lt_u32 s[58:59], v1, s[sgprSizeJ]            // coord1 < size1
s_and_b64 s[58:59], s[54:55], s[58:59]             // in0 && in1
_v_add_lshl_u32 v207, v2, v0, 0x1                  // scaleToBpe: accumulate d0 lower and *= bpe into Cin addr
v_cndmask_b32 v207, -1, v207, s[58:59]             // LDC clip if OOB. offset
_buffer_load_d16_b16 v208, v207, s[sgprSrdC:sgprSrdC+3], 0, offen offset:0,  sc0 sc1 // load C for beta calc
_v_add_lshl_u32 v207, v3, v0, 0x1                  // scaleToBpe: accumulate d0 lower and *= bpe into Cin addr
v_cndmask_b32 v207, -1, v207, s[58:59]             // LDD clip if OOB. offset
/* (d1,vc1,d0,vc0)=(5,1,1,0) */
_v_add_co_u32 v4, vcc, v0, 32                      // coord0.1: coord0 += d0*sg0*VW + vc0
v_cmp_lt_u32 s[54:55], v4, s[sgprSizeI]            // coord0 < size0
v_cmp_lt_u32 s[58:59], v1, s[sgprSizeJ]            // coord1 < size1
s_and_b64 s[58:59], s[54:55], s[58:59]             // in0 && in1
_v_add_lshl_u32 v210, v2, v4, 0x1                  // scaleToBpe: accumulate d0 lower and *= bpe into Cin addr
v_cndmask_b32 v210, -1, v210, s[58:59]             // LDC clip if OOB. offset
_buffer_load_d16_b16 v211, v210, s[sgprSrdC:sgprSrdC+3], 0, offen offset:0,  sc0 sc1 // load C for beta calc
_v_add_lshl_u32 v210, v3, v4, 0x1                  // scaleToBpe: accumulate d0 lower and *= bpe into Cin addr
v_cndmask_b32 v210, -1, v210, s[58:59]             // LDD clip if OOB. offset
/* (d1,vc1,d0,vc0)=(5,1,2,0) */
_v_add_co_u32 v4, vcc, v0, 64                      // coord0.1: coord0 += d0*sg0*VW + vc0
v_cmp_lt_u32 s[54:55], v4, s[sgprSizeI]            // coord0 < size0
v_cmp_lt_u32 s[58:59], v1, s[sgprSizeJ]            // coord1 < size1
s_and_b64 s[58:59], s[54:55], s[58:59]             // in0 && in1
_v_add_lshl_u32 v213, v2, v4, 0x1                  // scaleToBpe: accumulate d0 lower and *= bpe into Cin addr
v_cndmask_b32 v213, -1, v213, s[58:59]             // LDC clip if OOB. offset
_buffer_load_d16_b16 v214, v213, s[sgprSrdC:sgprSrdC+3], 0, offen offset:0,  sc0 sc1 // load C for beta calc
_v_add_lshl_u32 v213, v3, v4, 0x1                  // scaleToBpe: accumulate d0 lower and *= bpe into Cin addr
v_cndmask_b32 v213, -1, v213, s[58:59]             // LDD clip if OOB. offset
/* (d1,vc1,d0,vc0)=(5,1,3,0) */
s_mov_b32 s54, 96                                  // coordOffset0 d0=3 vc0=0
_v_add_co_u32 v4, vcc, v0, s54                     // coord0.2: coord0 += d0*sg0*VW + vc0
v_cmp_lt_u32 s[54:55], v4, s[sgprSizeI]            // coord0 < size0
v_cmp_lt_u32 s[58:59], v1, s[sgprSizeJ]            // coord1 < size1
s_and_b64 s[58:59], s[54:55], s[58:59]             // in0 && in1
_v_add_lshl_u32 v216, v2, v4, 0x1                  // scaleToBpe: accumulate d0 lower and *= bpe into Cin addr
v_cndmask_b32 v216, -1, v216, s[58:59]             // LDC clip if OOB. offset
_buffer_load_d16_b16 v217, v216, s[sgprSrdC:sgprSrdC+3], 0, offen offset:0,  sc0 sc1 // load C for beta calc
_v_add_lshl_u32 v216, v3, v4, 0x1                  // scaleToBpe: accumulate d0 lower and *= bpe into Cin addr
v_cndmask_b32 v216, -1, v216, s[58:59]             // LDD clip if OOB. offset
/* (d1,vc1,d0,vc0)=(5,1,4,0) */
s_mov_b32 s54, 128                                 // coordOffset0 d0=4 vc0=0
_v_add_co_u32 v4, vcc, v0, s54                     // coord0.2: coord0 += d0*sg0*VW + vc0
v_cmp_lt_u32 s[54:55], v4, s[sgprSizeI]            // coord0 < size0
v_cmp_lt_u32 s[58:59], v1, s[sgprSizeJ]            // coord1 < size1
s_and_b64 s[58:59], s[54:55], s[58:59]             // in0 && in1
_v_add_lshl_u32 v219, v2, v4, 0x1                  // scaleToBpe: accumulate d0 lower and *= bpe into Cin addr
v_cndmask_b32 v219, -1, v219, s[58:59]             // LDC clip if OOB. offset
_buffer_load_d16_b16 v220, v219, s[sgprSrdC:sgprSrdC+3], 0, offen offset:0,  sc0 sc1 // load C for beta calc
_v_add_lshl_u32 v219, v3, v4, 0x1                  // scaleToBpe: accumulate d0 lower and *= bpe into Cin addr
v_cndmask_b32 v219, -1, v219, s[58:59]             // LDD clip if OOB. offset
/* (d1,vc1,d0,vc0)=(5,1,5,0) */
s_mov_b32 s54, 160                                 // coordOffset0 d0=5 vc0=0
	;; [unrolled: 11-line block ×3, first 2 shown]
_v_add_co_u32 v4, vcc, v0, s54                     // coord0.2: coord0 += d0*sg0*VW + vc0
v_cmp_lt_u32 s[54:55], v4, s[sgprSizeI]            // coord0 < size0
v_cmp_lt_u32 s[58:59], v1, s[sgprSizeJ]            // coord1 < size1
s_and_b64 s[58:59], s[54:55], s[58:59]             // in0 && in1
_v_add_lshl_u32 v225, v2, v4, 0x1                  // scaleToBpe: accumulate d0 lower and *= bpe into Cin addr
v_cndmask_b32 v225, -1, v225, s[58:59]             // LDC clip if OOB. offset
_buffer_load_d16_b16 v226, v225, s[sgprSrdC:sgprSrdC+3], 0, offen offset:0,  sc0 sc1 // load C for beta calc
_v_add_lshl_u32 v225, v3, v4, 0x1                  // scaleToBpe: accumulate d0 lower and *= bpe into Cin addr
v_cndmask_b32 v225, -1, v225, s[58:59]             // LDD clip if OOB. offset
/* (d1,vc1,d0,vc0)=(5,2,0,0) */
_v_add_co_u32 v1, vcc, v1, 1                       // coord1.1: coord1Vgpr += d1*sg1*VW + vc1

/* Fix for UseInitialStridesCD, emitAddressSetupCode */
_v_add_u32 v2, v2, s[sgprStrideC1J]                // ROWINC- Move cinRowPtr to next row
_v_add_u32 v3, v3, s[sgprStrideD1J]                // Move coutRowPtr to next row
v_cmp_lt_u32 s[54:55], v0, s[sgprSizeI]            // coord0 < size0
v_cmp_lt_u32 s[58:59], v1, s[sgprSizeJ]            // coord1 < size1
s_and_b64 s[58:59], s[54:55], s[58:59]             // in0 && in1
_v_add_lshl_u32 v228, v2, v0, 0x1                  // scaleToBpe: accumulate d0 lower and *= bpe into Cin addr
v_cndmask_b32 v228, -1, v228, s[58:59]             // LDC clip if OOB. offset
_buffer_load_d16_b16 v229, v228, s[sgprSrdC:sgprSrdC+3], 0, offen offset:0,  sc0 sc1 // load C for beta calc
_v_add_lshl_u32 v228, v3, v0, 0x1                  // scaleToBpe: accumulate d0 lower and *= bpe into Cin addr
v_cndmask_b32 v228, -1, v228, s[58:59]             // LDD clip if OOB. offset
/* (d1,vc1,d0,vc0)=(5,2,1,0) */
_v_add_co_u32 v4, vcc, v0, 32                      // coord0.1: coord0 += d0*sg0*VW + vc0
v_cmp_lt_u32 s[54:55], v4, s[sgprSizeI]            // coord0 < size0
v_cmp_lt_u32 s[58:59], v1, s[sgprSizeJ]            // coord1 < size1
s_and_b64 s[58:59], s[54:55], s[58:59]             // in0 && in1
_v_add_lshl_u32 v231, v2, v4, 0x1                  // scaleToBpe: accumulate d0 lower and *= bpe into Cin addr
v_cndmask_b32 v231, -1, v231, s[58:59]             // LDC clip if OOB. offset
_buffer_load_d16_b16 v232, v231, s[sgprSrdC:sgprSrdC+3], 0, offen offset:0,  sc0 sc1 // load C for beta calc
_v_add_lshl_u32 v231, v3, v4, 0x1                  // scaleToBpe: accumulate d0 lower and *= bpe into Cin addr
v_cndmask_b32 v231, -1, v231, s[58:59]             // LDD clip if OOB. offset
/* (d1,vc1,d0,vc0)=(5,2,2,0) */
_v_add_co_u32 v4, vcc, v0, 64                      // coord0.1: coord0 += d0*sg0*VW + vc0
v_cmp_lt_u32 s[54:55], v4, s[sgprSizeI]            // coord0 < size0
v_cmp_lt_u32 s[58:59], v1, s[sgprSizeJ]            // coord1 < size1
s_and_b64 s[58:59], s[54:55], s[58:59]             // in0 && in1
_v_add_lshl_u32 v234, v2, v4, 0x1                  // scaleToBpe: accumulate d0 lower and *= bpe into Cin addr
v_cndmask_b32 v234, -1, v234, s[58:59]             // LDC clip if OOB. offset
_buffer_load_d16_b16 v235, v234, s[sgprSrdC:sgprSrdC+3], 0, offen offset:0,  sc0 sc1 // load C for beta calc
_v_add_lshl_u32 v234, v3, v4, 0x1                  // scaleToBpe: accumulate d0 lower and *= bpe into Cin addr
v_cndmask_b32 v234, -1, v234, s[58:59]             // LDD clip if OOB. offset
/* (d1,vc1,d0,vc0)=(5,2,3,0) */
s_mov_b32 s54, 96                                  // coordOffset0 d0=3 vc0=0
_v_add_co_u32 v4, vcc, v0, s54                     // coord0.2: coord0 += d0*sg0*VW + vc0
v_cmp_lt_u32 s[54:55], v4, s[sgprSizeI]            // coord0 < size0
v_cmp_lt_u32 s[58:59], v1, s[sgprSizeJ]            // coord1 < size1
s_and_b64 s[58:59], s[54:55], s[58:59]             // in0 && in1
_v_add_lshl_u32 v237, v2, v4, 0x1                  // scaleToBpe: accumulate d0 lower and *= bpe into Cin addr
v_cndmask_b32 v237, -1, v237, s[58:59]             // LDC clip if OOB. offset
_buffer_load_d16_b16 v238, v237, s[sgprSrdC:sgprSrdC+3], 0, offen offset:0,  sc0 sc1 // load C for beta calc
_v_add_lshl_u32 v237, v3, v4, 0x1                  // scaleToBpe: accumulate d0 lower and *= bpe into Cin addr
v_cndmask_b32 v237, -1, v237, s[58:59]             // LDD clip if OOB. offset
/* (d1,vc1,d0,vc0)=(5,2,4,0) */
s_mov_b32 s54, 128                                 // coordOffset0 d0=4 vc0=0
_v_add_co_u32 v4, vcc, v0, s54                     // coord0.2: coord0 += d0*sg0*VW + vc0
v_cmp_lt_u32 s[54:55], v4, s[sgprSizeI]            // coord0 < size0
v_cmp_lt_u32 s[58:59], v1, s[sgprSizeJ]            // coord1 < size1
s_and_b64 s[58:59], s[54:55], s[58:59]             // in0 && in1
_v_add_lshl_u32 v240, v2, v4, 0x1                  // scaleToBpe: accumulate d0 lower and *= bpe into Cin addr
v_cndmask_b32 v240, -1, v240, s[58:59]             // LDC clip if OOB. offset
_buffer_load_d16_b16 v241, v240, s[sgprSrdC:sgprSrdC+3], 0, offen offset:0,  sc0 sc1 // load C for beta calc
_v_add_lshl_u32 v240, v3, v4, 0x1                  // scaleToBpe: accumulate d0 lower and *= bpe into Cin addr
v_cndmask_b32 v240, -1, v240, s[58:59]             // LDD clip if OOB. offset
/* (d1,vc1,d0,vc0)=(5,2,5,0) */
s_mov_b32 s54, 160                                 // coordOffset0 d0=5 vc0=0
_v_add_co_u32 v4, vcc, v0, s54                     // coord0.2: coord0 += d0*sg0*VW + vc0
v_cmp_lt_u32 s[54:55], v4, s[sgprSizeI]            // coord0 < size0
v_cmp_lt_u32 s[58:59], v1, s[sgprSizeJ]            // coord1 < size1
s_and_b64 s[58:59], s[54:55], s[58:59]             // in0 && in1
_v_add_lshl_u32 v246, v2, v4, 0x1                  // scaleToBpe: accumulate d0 lower and *= bpe into Cin addr
v_cndmask_b32 v246, -1, v246, s[58:59]             // LDC clip if OOB. offset
_buffer_load_d16_b16 v247, v246, s[sgprSrdC:sgprSrdC+3], 0, offen offset:0,  sc0 sc1 // load C for beta calc
_v_add_lshl_u32 v246, v3, v4, 0x1                  // scaleToBpe: accumulate d0 lower and *= bpe into Cin addr
v_cndmask_b32 v246, -1, v246, s[58:59]             // LDD clip if OOB. offset
s_sleep 5 // optimization: sync and wait
s_barrier
v_accvgpr_read_b32 v[vgprValuC+8], acc71 // copy acc to vreg[80]
v_accvgpr_read_b32 v[vgprValuC+11], acc75 // copy acc to vreg[81]
v_accvgpr_read_b32 v[vgprValuC+14], acc79 // copy acc to vreg[82]
v_accvgpr_read_b32 v[vgprValuC+17], acc83 // copy acc to vreg[83]
v_accvgpr_read_b32 v[vgprValuC+20], acc84 // copy acc to vreg[84]
v_accvgpr_read_b32 v[vgprValuC+23], acc88 // copy acc to vreg[85]
v_accvgpr_read_b32 v[vgprValuC+26], acc92 // copy acc to vreg[86]
v_accvgpr_read_b32 v[vgprValuC+29], acc96 // copy acc to vreg[87]
v_accvgpr_read_b32 v[vgprValuC+32], acc100 // copy acc to vreg[88]
v_accvgpr_read_b32 v[vgprValuC+35], acc104 // copy acc to vreg[89]
v_accvgpr_read_b32 v[vgprValuC+38], acc108 // copy acc to vreg[90]
v_accvgpr_read_b32 v[vgprValuC+41], acc85 // copy acc to vreg[91]
v_accvgpr_read_b32 v[vgprValuC+44], acc89 // copy acc to vreg[92]
v_accvgpr_read_b32 v[vgprValuC+47], acc93 // copy acc to vreg[93]
v_accvgpr_read_b32 v[vgprValuC+50], acc97 // copy acc to vreg[94]
v_accvgpr_read_b32 v[vgprValuC+53], acc101 // copy acc to vreg[95]
v_accvgpr_read_b32 v[vgprValuC+56], acc105 // copy acc to vreg[96]
v_accvgpr_read_b32 v[vgprValuC+59], acc109 // copy acc to vreg[97]
v_accvgpr_read_b32 v[vgprValuC+62], acc86 // copy acc to vreg[98]
v_accvgpr_read_b32 v[vgprValuC+65], acc90 // copy acc to vreg[99]
v_accvgpr_read_b32 v[vgprValuC+68], acc94 // copy acc to vreg[100]
v_accvgpr_read_b32 v[vgprValuC+71], acc98 // copy acc to vreg[101]
v_accvgpr_read_b32 v[vgprValuC+74], acc102 // copy acc to vreg[102]
v_accvgpr_read_b32 v[vgprValuC+77], acc106 // copy acc to vreg[103]
v_accvgpr_read_b32 v[vgprValuC+80], acc110 // copy acc to vreg[104]
v_accvgpr_read_b32 v[vgprValuC+83], acc87 // copy acc to vreg[105]
v_accvgpr_read_b32 v[vgprValuC+86], acc91 // copy acc to vreg[106]
v_accvgpr_read_b32 v[vgprValuC+89], acc95 // copy acc to vreg[107]
v_accvgpr_read_b32 v[vgprValuC+92], acc99 // copy acc to vreg[108]
v_accvgpr_read_b32 v[vgprValuC+95], acc103 // copy acc to vreg[109]
v_accvgpr_read_b32 v[vgprValuC+98], acc107 // copy acc to vreg[110]
v_accvgpr_read_b32 v[vgprValuC+101], acc111 // copy acc to vreg[111]
v_accvgpr_read_b32 v[vgprValuC+104], acc112 // copy acc to vreg[112]
v_accvgpr_read_b32 v[vgprValuC+107], acc116 // copy acc to vreg[113]
v_accvgpr_read_b32 v[vgprValuC+110], acc120 // copy acc to vreg[114]
v_accvgpr_read_b32 v[vgprValuC+113], acc124 // copy acc to vreg[115]
v_accvgpr_read_b32 v[vgprValuC+116], acc128 // copy acc to vreg[116]
v_accvgpr_read_b32 v[vgprValuC+119], acc132 // copy acc to vreg[117]
v_accvgpr_read_b32 v[vgprValuC+122], acc136 // copy acc to vreg[118]
v_accvgpr_read_b32 v[vgprValuC+125], acc113 // copy acc to vreg[119]
v_accvgpr_read_b32 v[vgprValuC+128], acc117 // copy acc to vreg[120]
v_accvgpr_read_b32 v[vgprValuC+131], acc121 // copy acc to vreg[121]
v_accvgpr_read_b32 v[vgprValuC+134], acc125 // copy acc to vreg[122]
v_accvgpr_read_b32 v[vgprValuC+137], acc129 // copy acc to vreg[123]
v_accvgpr_read_b32 v[vgprValuC+140], acc133 // copy acc to vreg[124]
v_accvgpr_read_b32 v[vgprValuC+143], acc137 // copy acc to vreg[125]
v_accvgpr_read_b32 v[vgprValuC+146], acc114 // copy acc to vreg[126]
v_accvgpr_read_b32 v[vgprValuC+149], acc118 // copy acc to vreg[127]
v_accvgpr_read_b32 v[vgprValuC+152], acc122 // copy acc to vreg[128]
v_accvgpr_read_b32 v[vgprValuC+155], acc126 // copy acc to vreg[129]
v_accvgpr_read_b32 v[vgprValuC+158], acc130 // copy acc to vreg[130]
v_accvgpr_read_b32 v[vgprValuC+161], acc134 // copy acc to vreg[131]
v_accvgpr_read_b32 v[vgprValuC+164], acc138 // copy acc to vreg[132]
v_accvgpr_read_b32 v[vgprValuC+167], acc115 // copy acc to vreg[133]
v_accvgpr_read_b32 v[vgprValuC+170], acc119 // copy acc to vreg[134]
v_accvgpr_read_b32 v[vgprValuC+173], acc123 // copy acc to vreg[135]
v_accvgpr_read_b32 v[vgprValuC+176], acc127 // copy acc to vreg[136]
v_accvgpr_read_b32 v[vgprValuC+179], acc131 // copy acc to vreg[137]
v_accvgpr_read_b32 v[vgprValuC+182], acc135 // copy acc to vreg[138]
v_accvgpr_read_b32 v[vgprValuC+185], acc139 // copy acc to vreg[139]
v_accvgpr_read_b32 v[vgprValuC+188], acc140 // copy acc to vreg[140]
v_accvgpr_read_b32 v[vgprValuC+191], acc144 // copy acc to vreg[141]
v_accvgpr_read_b32 v[vgprValuC+194], acc148 // copy acc to vreg[142]
v_accvgpr_read_b32 v[vgprValuC+197], acc152 // copy acc to vreg[143]
v_accvgpr_read_b32 v[vgprValuC+200], acc156 // copy acc to vreg[144]
v_accvgpr_read_b32 v[vgprValuC+203], acc160 // copy acc to vreg[145]
v_accvgpr_read_b32 v[vgprValuC+206], acc164 // copy acc to vreg[146]
v_accvgpr_read_b32 v[vgprValuC+209], acc141 // copy acc to vreg[147]
v_accvgpr_read_b32 v[vgprValuC+212], acc145 // copy acc to vreg[148]
v_accvgpr_read_b32 v[vgprValuC+215], acc149 // copy acc to vreg[149]
v_accvgpr_read_b32 v[vgprValuC+218], acc153 // copy acc to vreg[150]
v_accvgpr_read_b32 v[vgprValuC+221], acc157 // copy acc to vreg[151]
v_accvgpr_read_b32 v[vgprValuC+224], acc161 // copy acc to vreg[152]
v_accvgpr_read_b32 v[vgprValuC+227], acc165 // copy acc to vreg[153]
v_accvgpr_read_b32 v[vgprValuC+230], acc142 // copy acc to vreg[154]
v_accvgpr_read_b32 v[vgprValuC+233], acc146 // copy acc to vreg[155]
v_accvgpr_read_b32 v[vgprValuC+236], acc150 // copy acc to vreg[156]
v_accvgpr_read_b32 v[vgprValuC+239], acc154 // copy acc to vreg[157]
v_accvgpr_read_b32 v[vgprValuC+245], acc158 // copy acc to vreg[158]
v_accvgpr_read_b32 v[vgprValuC+248], acc162 // copy acc to vreg[159]
s_nop 1                                            // 2 wait states required before reading vgpr

/* rC *= alpha batchElements=[(2, 3, 3, 0), (2, 4, 3, 0), (2, 5, 3, 0), (2, 6, 3, 0), (3, 0, 0, 0), (3, 1, 0, 0), (3, 2, 0, 0), (3, 3, 0, 0), (3, 4, 0, 0), (3, 5, 0, 0), (3, 6, 0, 0), (3, 0, 1, 0), (3, 1, 1, 0), (3, 2, 1, 0), (3, 3, 1, 0), (3, 4, 1, 0), (3, 5, 1, 0), (3, 6, 1, 0), (3, 0, 2, 0), (3, 1, 2, 0), (3, 2, 2, 0), (3, 3, 2, 0), (3, 4, 2, 0), (3, 5, 2, 0), (3, 6, 2, 0), (3, 0, 3, 0), (3, 1, 3, 0), (3, 2, 3, 0), (3, 3, 3, 0), (3, 4, 3, 0), (3, 5, 3, 0), (3, 6, 3, 0), (4, 0, 0, 0), (4, 1, 0, 0), (4, 2, 0, 0), (4, 3, 0, 0), (4, 4, 0, 0), (4, 5, 0, 0), (4, 6, 0, 0), (4, 0, 1, 0), (4, 1, 1, 0), (4, 2, 1, 0), (4, 3, 1, 0), (4, 4, 1, 0), (4, 5, 1, 0), (4, 6, 1, 0), (4, 0, 2, 0), (4, 1, 2, 0), (4, 2, 2, 0), (4, 3, 2, 0), (4, 4, 2, 0), (4, 5, 2, 0), (4, 6, 2, 0), (4, 0, 3, 0), (4, 1, 3, 0), (4, 2, 3, 0), (4, 3, 3, 0), (4, 4, 3, 0), (4, 5, 3, 0), (4, 6, 3, 0), (5, 0, 0, 0), (5, 1, 0, 0), (5, 2, 0, 0), (5, 3, 0, 0), (5, 4, 0, 0), (5, 5, 0, 0), (5, 6, 0, 0), (5, 0, 1, 0), (5, 1, 1, 0), (5, 2, 1, 0), (5, 3, 1, 0), (5, 4, 1, 0), (5, 5, 1, 0), (5, 6, 1, 0), (5, 0, 2, 0), (5, 1, 2, 0), (5, 2, 2, 0), (5, 3, 2, 0), (5, 4, 2, 0), (5, 5, 2, 0)] */
v_mul_f32 v[vgprValuC+8], s[sgprAlpha], v[vgprValuC+8] // *= alpha
v_mul_f32 v[vgprValuC+11], s[sgprAlpha], v[vgprValuC+11] // *= alpha
	;; [unrolled: 1-line block ×80, first 2 shown]
s_waitcnt vmcnt(0)                                 // wait C

/* apply mask, calc new C and issue writes */
v_fma_mix_f32 v[vgprValuC+8], s[sgprBeta], v7, v[vgprValuC+8], op_sel:[0,0,0] op_sel_hi:[0,1,0] // //C*=beta
v_cvt_f16_f32 v[vgprValuC+8], v[vgprValuC+8]       // convert C to fp16
_buffer_store_b16 v8, v6, s[sgprSrdD:sgprSrdD+3], 0, offen, offset:0,  sc0 sc1 // store D
v_fma_mix_f32 v[vgprValuC+11], s[sgprBeta], v10, v[vgprValuC+11], op_sel:[0,0,0] op_sel_hi:[0,1,0] // //C*=beta
v_cvt_f16_f32 v[vgprValuC+11], v[vgprValuC+11]     // convert C to fp16
_buffer_store_b16 v11, v9, s[sgprSrdD:sgprSrdD+3], 0, offen, offset:0,  sc0 sc1 // store D
v_fma_mix_f32 v[vgprValuC+14], s[sgprBeta], v13, v[vgprValuC+14], op_sel:[0,0,0] op_sel_hi:[0,1,0] // //C*=beta
v_cvt_f16_f32 v[vgprValuC+14], v[vgprValuC+14]     // convert C to fp16
	;; [unrolled: 3-line block ×30, first 2 shown]
_buffer_store_b16 v98, v96, s[sgprSrdD:sgprSrdD+3], 0, offen, offset:0,  sc0 sc1 // store D
v_fma_mix_f32 v[vgprValuC+101], s[sgprBeta], v100, v[vgprValuC+101], op_sel:[0,0,0] op_sel_hi:[0,1,0] // //C*=beta
v_cvt_f16_f32 v[vgprValuC+101], v[vgprValuC+101]   // convert C to fp16
_buffer_store_b16 v101, v99, s[sgprSrdD:sgprSrdD+3], 0, offen, offset:0,  sc0 sc1 // store D
v_fma_mix_f32 v[vgprValuC+104], s[sgprBeta], v103, v[vgprValuC+104], op_sel:[0,0,0] op_sel_hi:[0,1,0] // //C*=beta
v_cvt_f16_f32 v[vgprValuC+104], v[vgprValuC+104]   // convert C to fp16
	;; [unrolled: 3-line block ×49, first 2 shown]
_buffer_store_b16 v248, v246, s[sgprSrdD:sgprSrdD+3], 0, offen, offset:0,  sc0 sc1 // store D
s_nop 0                                            // 1 wait state required when next inst writes vgprs held by previous dwordx4 store inst
/* optSingleColVgpr=0 optSharedColVgpr=0 optSGPRUsage=BufferLoad_Edge_Mask optSrdIncForRow=0 */
s_sleep 5 // optimization: sync and wait
s_barrier

/******************************************/
/* Global Write Alpha Beta Edge Batch #2 (d1,d0,vc1,vc0) = */
/*    (5,6,2,0:vw1); (5,0,3,0:vw1); (5,1,3,0:vw1); (5,2,3,0:vw1); (5,3,3,0:vw1); (5,4,3,0:vw1); (5,5,3,0:vw1); (5,6,3,0:vw1); (6,0,0,0:vw1); (6,1,0,0:vw1); (6,2,0,0:vw1); (6,3,0,0:vw1); (6,4,0,0:vw1); (6,5,0,0:vw1); (6,6,0,0:vw1); (6,0,1,0:vw1); (6,1,1,0:vw1); (6,2,1,0:vw1); (6,3,1,0:vw1); (6,4,1,0:vw1); (6,5,1,0:vw1); (6,6,1,0:vw1); (6,0,2,0:vw1); (6,1,2,0:vw1); (6,2,2,0:vw1); (6,3,2,0:vw1); (6,4,2,0:vw1); (6,5,2,0:vw1); (6,6,2,0:vw1); (6,0,3,0:vw1); (6,1,3,0:vw1); (6,2,3,0:vw1); (6,3,3,0:vw1); (6,4,3,0:vw1); (6,5,3,0:vw1); (6,6,3,0:vw1); (7,0,0,0:vw1); (7,1,0,0:vw1); (7,2,0,0:vw1); (7,3,0,0:vw1); (7,4,0,0:vw1); (7,5,0,0:vw1); (7,6,0,0:vw1); (7,0,1,0:vw1); (7,1,1,0:vw1); (7,2,1,0:vw1); (7,3,1,0:vw1); (7,4,1,0:vw1); (7,5,1,0:vw1); (7,6,1,0:vw1); (7,0,2,0:vw1); (7,1,2,0:vw1); (7,2,2,0:vw1); (7,3,2,0:vw1); (7,4,2,0:vw1); (7,5,2,0:vw1); (7,6,2,0:vw1); (7,0,3,0:vw1); (7,1,3,0:vw1); (7,2,3,0:vw1); (7,3,3,0:vw1); (7,4,3,0:vw1); (7,5,3,0:vw1); (7,6,3,0:vw1) */
/******************************************/

/* calc coords, apply mask, and issue loads (if necessary) */
/* (d1,vc1,d0,vc0)=(5,2,6,0) */
s_mov_b32 s54, 192                                 // coordOffset0 d0=6 vc0=0
_v_add_co_u32 v4, vcc, v0, s54                     // coord0.2: coord0 += d0*sg0*VW + vc0
v_cmp_lt_u32 s[54:55], v4, s[sgprSizeI]            // coord0 < size0
v_cmp_lt_u32 s[58:59], v1, s[sgprSizeJ]            // coord1 < size1
s_and_b64 s[58:59], s[54:55], s[58:59]             // in0 && in1
_v_add_lshl_u32 v6, v2, v4, 0x1                    // scaleToBpe: accumulate d0 lower and *= bpe into Cin addr
v_cndmask_b32 v6, -1, v6, s[58:59]                 // LDC clip if OOB. offset
_buffer_load_d16_b16 v7, v6, s[sgprSrdC:sgprSrdC+3], 0, offen offset:0,  sc0 sc1 // load C for beta calc
_v_add_lshl_u32 v6, v3, v4, 0x1                    // scaleToBpe: accumulate d0 lower and *= bpe into Cin addr
v_cndmask_b32 v6, -1, v6, s[58:59]                 // LDD clip if OOB. offset
/* (d1,vc1,d0,vc0)=(5,3,0,0) */
_v_add_co_u32 v1, vcc, v1, 1                       // coord1.1: coord1Vgpr += d1*sg1*VW + vc1

/* Fix for UseInitialStridesCD, emitAddressSetupCode */
_v_add_u32 v2, v2, s[sgprStrideC1J]                // ROWINC- Move cinRowPtr to next row
_v_add_u32 v3, v3, s[sgprStrideD1J]                // Move coutRowPtr to next row
v_cmp_lt_u32 s[54:55], v0, s[sgprSizeI]            // coord0 < size0
v_cmp_lt_u32 s[58:59], v1, s[sgprSizeJ]            // coord1 < size1
s_and_b64 s[58:59], s[54:55], s[58:59]             // in0 && in1
_v_add_lshl_u32 v9, v2, v0, 0x1                    // scaleToBpe: accumulate d0 lower and *= bpe into Cin addr
v_cndmask_b32 v9, -1, v9, s[58:59]                 // LDC clip if OOB. offset
_buffer_load_d16_b16 v10, v9, s[sgprSrdC:sgprSrdC+3], 0, offen offset:0,  sc0 sc1 // load C for beta calc
_v_add_lshl_u32 v9, v3, v0, 0x1                    // scaleToBpe: accumulate d0 lower and *= bpe into Cin addr
v_cndmask_b32 v9, -1, v9, s[58:59]                 // LDD clip if OOB. offset
/* (d1,vc1,d0,vc0)=(5,3,1,0) */
_v_add_co_u32 v4, vcc, v0, 32                      // coord0.1: coord0 += d0*sg0*VW + vc0
v_cmp_lt_u32 s[54:55], v4, s[sgprSizeI]            // coord0 < size0
v_cmp_lt_u32 s[58:59], v1, s[sgprSizeJ]            // coord1 < size1
s_and_b64 s[58:59], s[54:55], s[58:59]             // in0 && in1
_v_add_lshl_u32 v12, v2, v4, 0x1                   // scaleToBpe: accumulate d0 lower and *= bpe into Cin addr
v_cndmask_b32 v12, -1, v12, s[58:59]               // LDC clip if OOB. offset
_buffer_load_d16_b16 v13, v12, s[sgprSrdC:sgprSrdC+3], 0, offen offset:0,  sc0 sc1 // load C for beta calc
_v_add_lshl_u32 v12, v3, v4, 0x1                   // scaleToBpe: accumulate d0 lower and *= bpe into Cin addr
v_cndmask_b32 v12, -1, v12, s[58:59]               // LDD clip if OOB. offset
/* (d1,vc1,d0,vc0)=(5,3,2,0) */
_v_add_co_u32 v4, vcc, v0, 64                      // coord0.1: coord0 += d0*sg0*VW + vc0
v_cmp_lt_u32 s[54:55], v4, s[sgprSizeI]            // coord0 < size0
v_cmp_lt_u32 s[58:59], v1, s[sgprSizeJ]            // coord1 < size1
s_and_b64 s[58:59], s[54:55], s[58:59]             // in0 && in1
_v_add_lshl_u32 v15, v2, v4, 0x1                   // scaleToBpe: accumulate d0 lower and *= bpe into Cin addr
v_cndmask_b32 v15, -1, v15, s[58:59]               // LDC clip if OOB. offset
_buffer_load_d16_b16 v16, v15, s[sgprSrdC:sgprSrdC+3], 0, offen offset:0,  sc0 sc1 // load C for beta calc
_v_add_lshl_u32 v15, v3, v4, 0x1                   // scaleToBpe: accumulate d0 lower and *= bpe into Cin addr
v_cndmask_b32 v15, -1, v15, s[58:59]               // LDD clip if OOB. offset
/* (d1,vc1,d0,vc0)=(5,3,3,0) */
s_mov_b32 s54, 96                                  // coordOffset0 d0=3 vc0=0
_v_add_co_u32 v4, vcc, v0, s54                     // coord0.2: coord0 += d0*sg0*VW + vc0
v_cmp_lt_u32 s[54:55], v4, s[sgprSizeI]            // coord0 < size0
v_cmp_lt_u32 s[58:59], v1, s[sgprSizeJ]            // coord1 < size1
s_and_b64 s[58:59], s[54:55], s[58:59]             // in0 && in1
_v_add_lshl_u32 v18, v2, v4, 0x1                   // scaleToBpe: accumulate d0 lower and *= bpe into Cin addr
v_cndmask_b32 v18, -1, v18, s[58:59]               // LDC clip if OOB. offset
_buffer_load_d16_b16 v19, v18, s[sgprSrdC:sgprSrdC+3], 0, offen offset:0,  sc0 sc1 // load C for beta calc
_v_add_lshl_u32 v18, v3, v4, 0x1                   // scaleToBpe: accumulate d0 lower and *= bpe into Cin addr
v_cndmask_b32 v18, -1, v18, s[58:59]               // LDD clip if OOB. offset
/* (d1,vc1,d0,vc0)=(5,3,4,0) */
s_mov_b32 s54, 128                                 // coordOffset0 d0=4 vc0=0
_v_add_co_u32 v4, vcc, v0, s54                     // coord0.2: coord0 += d0*sg0*VW + vc0
v_cmp_lt_u32 s[54:55], v4, s[sgprSizeI]            // coord0 < size0
v_cmp_lt_u32 s[58:59], v1, s[sgprSizeJ]            // coord1 < size1
s_and_b64 s[58:59], s[54:55], s[58:59]             // in0 && in1
_v_add_lshl_u32 v21, v2, v4, 0x1                   // scaleToBpe: accumulate d0 lower and *= bpe into Cin addr
v_cndmask_b32 v21, -1, v21, s[58:59]               // LDC clip if OOB. offset
_buffer_load_d16_b16 v22, v21, s[sgprSrdC:sgprSrdC+3], 0, offen offset:0,  sc0 sc1 // load C for beta calc
_v_add_lshl_u32 v21, v3, v4, 0x1                   // scaleToBpe: accumulate d0 lower and *= bpe into Cin addr
v_cndmask_b32 v21, -1, v21, s[58:59]               // LDD clip if OOB. offset
/* (d1,vc1,d0,vc0)=(5,3,5,0) */
s_mov_b32 s54, 160                                 // coordOffset0 d0=5 vc0=0
	;; [unrolled: 11-line block ×3, first 2 shown]
_v_add_co_u32 v4, vcc, v0, s54                     // coord0.2: coord0 += d0*sg0*VW + vc0
v_cmp_lt_u32 s[54:55], v4, s[sgprSizeI]            // coord0 < size0
v_cmp_lt_u32 s[58:59], v1, s[sgprSizeJ]            // coord1 < size1
s_and_b64 s[58:59], s[54:55], s[58:59]             // in0 && in1
_v_add_lshl_u32 v27, v2, v4, 0x1                   // scaleToBpe: accumulate d0 lower and *= bpe into Cin addr
v_cndmask_b32 v27, -1, v27, s[58:59]               // LDC clip if OOB. offset
_buffer_load_d16_b16 v28, v27, s[sgprSrdC:sgprSrdC+3], 0, offen offset:0,  sc0 sc1 // load C for beta calc
_v_add_lshl_u32 v27, v3, v4, 0x1                   // scaleToBpe: accumulate d0 lower and *= bpe into Cin addr
v_cndmask_b32 v27, -1, v27, s[58:59]               // LDD clip if OOB. offset
/* (d1,vc1,d0,vc0)=(6,0,0,0) */
_v_add_co_u32 v1, vcc, v1, 29                      // coord1.1: coord1Vgpr += d1*sg1*VW + vc1

/* Fix for UseInitialStridesCD, emitAddressSetupCode */
s_mul_i32 s54, s[sgprStrideC1J], 29                // scale stride
_v_add_u32 v2, v2, s54                             // ROWINC- Move cinRowPtr to next row
s_mul_i32 s54, s[sgprStrideD1J], 29                // scale stride
_v_add_u32 v3, v3, s54                             // Move coutRowPtr to next row
v_cmp_lt_u32 s[54:55], v0, s[sgprSizeI]            // coord0 < size0
v_cmp_lt_u32 s[58:59], v1, s[sgprSizeJ]            // coord1 < size1
s_and_b64 s[58:59], s[54:55], s[58:59]             // in0 && in1
_v_add_lshl_u32 v30, v2, v0, 0x1                   // scaleToBpe: accumulate d0 lower and *= bpe into Cin addr
v_cndmask_b32 v30, -1, v30, s[58:59]               // LDC clip if OOB. offset
_buffer_load_d16_b16 v31, v30, s[sgprSrdC:sgprSrdC+3], 0, offen offset:0,  sc0 sc1 // load C for beta calc
_v_add_lshl_u32 v30, v3, v0, 0x1                   // scaleToBpe: accumulate d0 lower and *= bpe into Cin addr
v_cndmask_b32 v30, -1, v30, s[58:59]               // LDD clip if OOB. offset
/* (d1,vc1,d0,vc0)=(6,0,1,0) */
_v_add_co_u32 v4, vcc, v0, 32                      // coord0.1: coord0 += d0*sg0*VW + vc0
v_cmp_lt_u32 s[54:55], v4, s[sgprSizeI]            // coord0 < size0
v_cmp_lt_u32 s[58:59], v1, s[sgprSizeJ]            // coord1 < size1
s_and_b64 s[58:59], s[54:55], s[58:59]             // in0 && in1
_v_add_lshl_u32 v33, v2, v4, 0x1                   // scaleToBpe: accumulate d0 lower and *= bpe into Cin addr
v_cndmask_b32 v33, -1, v33, s[58:59]               // LDC clip if OOB. offset
_buffer_load_d16_b16 v34, v33, s[sgprSrdC:sgprSrdC+3], 0, offen offset:0,  sc0 sc1 // load C for beta calc
_v_add_lshl_u32 v33, v3, v4, 0x1                   // scaleToBpe: accumulate d0 lower and *= bpe into Cin addr
v_cndmask_b32 v33, -1, v33, s[58:59]               // LDD clip if OOB. offset
/* (d1,vc1,d0,vc0)=(6,0,2,0) */
_v_add_co_u32 v4, vcc, v0, 64                      // coord0.1: coord0 += d0*sg0*VW + vc0
v_cmp_lt_u32 s[54:55], v4, s[sgprSizeI]            // coord0 < size0
v_cmp_lt_u32 s[58:59], v1, s[sgprSizeJ]            // coord1 < size1
s_and_b64 s[58:59], s[54:55], s[58:59]             // in0 && in1
_v_add_lshl_u32 v36, v2, v4, 0x1                   // scaleToBpe: accumulate d0 lower and *= bpe into Cin addr
v_cndmask_b32 v36, -1, v36, s[58:59]               // LDC clip if OOB. offset
_buffer_load_d16_b16 v37, v36, s[sgprSrdC:sgprSrdC+3], 0, offen offset:0,  sc0 sc1 // load C for beta calc
_v_add_lshl_u32 v36, v3, v4, 0x1                   // scaleToBpe: accumulate d0 lower and *= bpe into Cin addr
v_cndmask_b32 v36, -1, v36, s[58:59]               // LDD clip if OOB. offset
/* (d1,vc1,d0,vc0)=(6,0,3,0) */
s_mov_b32 s54, 96                                  // coordOffset0 d0=3 vc0=0
_v_add_co_u32 v4, vcc, v0, s54                     // coord0.2: coord0 += d0*sg0*VW + vc0
v_cmp_lt_u32 s[54:55], v4, s[sgprSizeI]            // coord0 < size0
v_cmp_lt_u32 s[58:59], v1, s[sgprSizeJ]            // coord1 < size1
s_and_b64 s[58:59], s[54:55], s[58:59]             // in0 && in1
_v_add_lshl_u32 v39, v2, v4, 0x1                   // scaleToBpe: accumulate d0 lower and *= bpe into Cin addr
v_cndmask_b32 v39, -1, v39, s[58:59]               // LDC clip if OOB. offset
_buffer_load_d16_b16 v40, v39, s[sgprSrdC:sgprSrdC+3], 0, offen offset:0,  sc0 sc1 // load C for beta calc
_v_add_lshl_u32 v39, v3, v4, 0x1                   // scaleToBpe: accumulate d0 lower and *= bpe into Cin addr
v_cndmask_b32 v39, -1, v39, s[58:59]               // LDD clip if OOB. offset
/* (d1,vc1,d0,vc0)=(6,0,4,0) */
s_mov_b32 s54, 128                                 // coordOffset0 d0=4 vc0=0
_v_add_co_u32 v4, vcc, v0, s54                     // coord0.2: coord0 += d0*sg0*VW + vc0
v_cmp_lt_u32 s[54:55], v4, s[sgprSizeI]            // coord0 < size0
v_cmp_lt_u32 s[58:59], v1, s[sgprSizeJ]            // coord1 < size1
s_and_b64 s[58:59], s[54:55], s[58:59]             // in0 && in1
_v_add_lshl_u32 v42, v2, v4, 0x1                   // scaleToBpe: accumulate d0 lower and *= bpe into Cin addr
v_cndmask_b32 v42, -1, v42, s[58:59]               // LDC clip if OOB. offset
_buffer_load_d16_b16 v43, v42, s[sgprSrdC:sgprSrdC+3], 0, offen offset:0,  sc0 sc1 // load C for beta calc
_v_add_lshl_u32 v42, v3, v4, 0x1                   // scaleToBpe: accumulate d0 lower and *= bpe into Cin addr
v_cndmask_b32 v42, -1, v42, s[58:59]               // LDD clip if OOB. offset
/* (d1,vc1,d0,vc0)=(6,0,5,0) */
s_mov_b32 s54, 160                                 // coordOffset0 d0=5 vc0=0
	;; [unrolled: 11-line block ×3, first 2 shown]
_v_add_co_u32 v4, vcc, v0, s54                     // coord0.2: coord0 += d0*sg0*VW + vc0
v_cmp_lt_u32 s[54:55], v4, s[sgprSizeI]            // coord0 < size0
v_cmp_lt_u32 s[58:59], v1, s[sgprSizeJ]            // coord1 < size1
s_and_b64 s[58:59], s[54:55], s[58:59]             // in0 && in1
_v_add_lshl_u32 v48, v2, v4, 0x1                   // scaleToBpe: accumulate d0 lower and *= bpe into Cin addr
v_cndmask_b32 v48, -1, v48, s[58:59]               // LDC clip if OOB. offset
_buffer_load_d16_b16 v49, v48, s[sgprSrdC:sgprSrdC+3], 0, offen offset:0,  sc0 sc1 // load C for beta calc
_v_add_lshl_u32 v48, v3, v4, 0x1                   // scaleToBpe: accumulate d0 lower and *= bpe into Cin addr
v_cndmask_b32 v48, -1, v48, s[58:59]               // LDD clip if OOB. offset
/* (d1,vc1,d0,vc0)=(6,1,0,0) */
_v_add_co_u32 v1, vcc, v1, 1                       // coord1.1: coord1Vgpr += d1*sg1*VW + vc1

/* Fix for UseInitialStridesCD, emitAddressSetupCode */
_v_add_u32 v2, v2, s[sgprStrideC1J]                // ROWINC- Move cinRowPtr to next row
_v_add_u32 v3, v3, s[sgprStrideD1J]                // Move coutRowPtr to next row
v_cmp_lt_u32 s[54:55], v0, s[sgprSizeI]            // coord0 < size0
v_cmp_lt_u32 s[58:59], v1, s[sgprSizeJ]            // coord1 < size1
s_and_b64 s[58:59], s[54:55], s[58:59]             // in0 && in1
_v_add_lshl_u32 v51, v2, v0, 0x1                   // scaleToBpe: accumulate d0 lower and *= bpe into Cin addr
v_cndmask_b32 v51, -1, v51, s[58:59]               // LDC clip if OOB. offset
_buffer_load_d16_b16 v52, v51, s[sgprSrdC:sgprSrdC+3], 0, offen offset:0,  sc0 sc1 // load C for beta calc
_v_add_lshl_u32 v51, v3, v0, 0x1                   // scaleToBpe: accumulate d0 lower and *= bpe into Cin addr
v_cndmask_b32 v51, -1, v51, s[58:59]               // LDD clip if OOB. offset
/* (d1,vc1,d0,vc0)=(6,1,1,0) */
_v_add_co_u32 v4, vcc, v0, 32                      // coord0.1: coord0 += d0*sg0*VW + vc0
v_cmp_lt_u32 s[54:55], v4, s[sgprSizeI]            // coord0 < size0
v_cmp_lt_u32 s[58:59], v1, s[sgprSizeJ]            // coord1 < size1
s_and_b64 s[58:59], s[54:55], s[58:59]             // in0 && in1
_v_add_lshl_u32 v54, v2, v4, 0x1                   // scaleToBpe: accumulate d0 lower and *= bpe into Cin addr
v_cndmask_b32 v54, -1, v54, s[58:59]               // LDC clip if OOB. offset
_buffer_load_d16_b16 v55, v54, s[sgprSrdC:sgprSrdC+3], 0, offen offset:0,  sc0 sc1 // load C for beta calc
_v_add_lshl_u32 v54, v3, v4, 0x1                   // scaleToBpe: accumulate d0 lower and *= bpe into Cin addr
v_cndmask_b32 v54, -1, v54, s[58:59]               // LDD clip if OOB. offset
/* (d1,vc1,d0,vc0)=(6,1,2,0) */
_v_add_co_u32 v4, vcc, v0, 64                      // coord0.1: coord0 += d0*sg0*VW + vc0
v_cmp_lt_u32 s[54:55], v4, s[sgprSizeI]            // coord0 < size0
v_cmp_lt_u32 s[58:59], v1, s[sgprSizeJ]            // coord1 < size1
s_and_b64 s[58:59], s[54:55], s[58:59]             // in0 && in1
_v_add_lshl_u32 v57, v2, v4, 0x1                   // scaleToBpe: accumulate d0 lower and *= bpe into Cin addr
v_cndmask_b32 v57, -1, v57, s[58:59]               // LDC clip if OOB. offset
_buffer_load_d16_b16 v58, v57, s[sgprSrdC:sgprSrdC+3], 0, offen offset:0,  sc0 sc1 // load C for beta calc
_v_add_lshl_u32 v57, v3, v4, 0x1                   // scaleToBpe: accumulate d0 lower and *= bpe into Cin addr
v_cndmask_b32 v57, -1, v57, s[58:59]               // LDD clip if OOB. offset
/* (d1,vc1,d0,vc0)=(6,1,3,0) */
s_mov_b32 s54, 96                                  // coordOffset0 d0=3 vc0=0
_v_add_co_u32 v4, vcc, v0, s54                     // coord0.2: coord0 += d0*sg0*VW + vc0
v_cmp_lt_u32 s[54:55], v4, s[sgprSizeI]            // coord0 < size0
v_cmp_lt_u32 s[58:59], v1, s[sgprSizeJ]            // coord1 < size1
s_and_b64 s[58:59], s[54:55], s[58:59]             // in0 && in1
_v_add_lshl_u32 v60, v2, v4, 0x1                   // scaleToBpe: accumulate d0 lower and *= bpe into Cin addr
v_cndmask_b32 v60, -1, v60, s[58:59]               // LDC clip if OOB. offset
_buffer_load_d16_b16 v61, v60, s[sgprSrdC:sgprSrdC+3], 0, offen offset:0,  sc0 sc1 // load C for beta calc
_v_add_lshl_u32 v60, v3, v4, 0x1                   // scaleToBpe: accumulate d0 lower and *= bpe into Cin addr
v_cndmask_b32 v60, -1, v60, s[58:59]               // LDD clip if OOB. offset
/* (d1,vc1,d0,vc0)=(6,1,4,0) */
s_mov_b32 s54, 128                                 // coordOffset0 d0=4 vc0=0
_v_add_co_u32 v4, vcc, v0, s54                     // coord0.2: coord0 += d0*sg0*VW + vc0
v_cmp_lt_u32 s[54:55], v4, s[sgprSizeI]            // coord0 < size0
v_cmp_lt_u32 s[58:59], v1, s[sgprSizeJ]            // coord1 < size1
s_and_b64 s[58:59], s[54:55], s[58:59]             // in0 && in1
_v_add_lshl_u32 v63, v2, v4, 0x1                   // scaleToBpe: accumulate d0 lower and *= bpe into Cin addr
v_cndmask_b32 v63, -1, v63, s[58:59]               // LDC clip if OOB. offset
_buffer_load_d16_b16 v64, v63, s[sgprSrdC:sgprSrdC+3], 0, offen offset:0,  sc0 sc1 // load C for beta calc
_v_add_lshl_u32 v63, v3, v4, 0x1                   // scaleToBpe: accumulate d0 lower and *= bpe into Cin addr
v_cndmask_b32 v63, -1, v63, s[58:59]               // LDD clip if OOB. offset
/* (d1,vc1,d0,vc0)=(6,1,5,0) */
s_mov_b32 s54, 160                                 // coordOffset0 d0=5 vc0=0
	;; [unrolled: 11-line block ×3, first 2 shown]
_v_add_co_u32 v4, vcc, v0, s54                     // coord0.2: coord0 += d0*sg0*VW + vc0
v_cmp_lt_u32 s[54:55], v4, s[sgprSizeI]            // coord0 < size0
v_cmp_lt_u32 s[58:59], v1, s[sgprSizeJ]            // coord1 < size1
s_and_b64 s[58:59], s[54:55], s[58:59]             // in0 && in1
_v_add_lshl_u32 v69, v2, v4, 0x1                   // scaleToBpe: accumulate d0 lower and *= bpe into Cin addr
v_cndmask_b32 v69, -1, v69, s[58:59]               // LDC clip if OOB. offset
_buffer_load_d16_b16 v70, v69, s[sgprSrdC:sgprSrdC+3], 0, offen offset:0,  sc0 sc1 // load C for beta calc
_v_add_lshl_u32 v69, v3, v4, 0x1                   // scaleToBpe: accumulate d0 lower and *= bpe into Cin addr
v_cndmask_b32 v69, -1, v69, s[58:59]               // LDD clip if OOB. offset
/* (d1,vc1,d0,vc0)=(6,2,0,0) */
_v_add_co_u32 v1, vcc, v1, 1                       // coord1.1: coord1Vgpr += d1*sg1*VW + vc1

/* Fix for UseInitialStridesCD, emitAddressSetupCode */
_v_add_u32 v2, v2, s[sgprStrideC1J]                // ROWINC- Move cinRowPtr to next row
_v_add_u32 v3, v3, s[sgprStrideD1J]                // Move coutRowPtr to next row
v_cmp_lt_u32 s[54:55], v0, s[sgprSizeI]            // coord0 < size0
v_cmp_lt_u32 s[58:59], v1, s[sgprSizeJ]            // coord1 < size1
s_and_b64 s[58:59], s[54:55], s[58:59]             // in0 && in1
_v_add_lshl_u32 v72, v2, v0, 0x1                   // scaleToBpe: accumulate d0 lower and *= bpe into Cin addr
v_cndmask_b32 v72, -1, v72, s[58:59]               // LDC clip if OOB. offset
_buffer_load_d16_b16 v73, v72, s[sgprSrdC:sgprSrdC+3], 0, offen offset:0,  sc0 sc1 // load C for beta calc
_v_add_lshl_u32 v72, v3, v0, 0x1                   // scaleToBpe: accumulate d0 lower and *= bpe into Cin addr
v_cndmask_b32 v72, -1, v72, s[58:59]               // LDD clip if OOB. offset
/* (d1,vc1,d0,vc0)=(6,2,1,0) */
_v_add_co_u32 v4, vcc, v0, 32                      // coord0.1: coord0 += d0*sg0*VW + vc0
v_cmp_lt_u32 s[54:55], v4, s[sgprSizeI]            // coord0 < size0
v_cmp_lt_u32 s[58:59], v1, s[sgprSizeJ]            // coord1 < size1
s_and_b64 s[58:59], s[54:55], s[58:59]             // in0 && in1
_v_add_lshl_u32 v75, v2, v4, 0x1                   // scaleToBpe: accumulate d0 lower and *= bpe into Cin addr
v_cndmask_b32 v75, -1, v75, s[58:59]               // LDC clip if OOB. offset
_buffer_load_d16_b16 v76, v75, s[sgprSrdC:sgprSrdC+3], 0, offen offset:0,  sc0 sc1 // load C for beta calc
_v_add_lshl_u32 v75, v3, v4, 0x1                   // scaleToBpe: accumulate d0 lower and *= bpe into Cin addr
v_cndmask_b32 v75, -1, v75, s[58:59]               // LDD clip if OOB. offset
/* (d1,vc1,d0,vc0)=(6,2,2,0) */
_v_add_co_u32 v4, vcc, v0, 64                      // coord0.1: coord0 += d0*sg0*VW + vc0
v_cmp_lt_u32 s[54:55], v4, s[sgprSizeI]            // coord0 < size0
v_cmp_lt_u32 s[58:59], v1, s[sgprSizeJ]            // coord1 < size1
s_and_b64 s[58:59], s[54:55], s[58:59]             // in0 && in1
_v_add_lshl_u32 v78, v2, v4, 0x1                   // scaleToBpe: accumulate d0 lower and *= bpe into Cin addr
v_cndmask_b32 v78, -1, v78, s[58:59]               // LDC clip if OOB. offset
_buffer_load_d16_b16 v79, v78, s[sgprSrdC:sgprSrdC+3], 0, offen offset:0,  sc0 sc1 // load C for beta calc
_v_add_lshl_u32 v78, v3, v4, 0x1                   // scaleToBpe: accumulate d0 lower and *= bpe into Cin addr
v_cndmask_b32 v78, -1, v78, s[58:59]               // LDD clip if OOB. offset
/* (d1,vc1,d0,vc0)=(6,2,3,0) */
s_mov_b32 s54, 96                                  // coordOffset0 d0=3 vc0=0
_v_add_co_u32 v4, vcc, v0, s54                     // coord0.2: coord0 += d0*sg0*VW + vc0
v_cmp_lt_u32 s[54:55], v4, s[sgprSizeI]            // coord0 < size0
v_cmp_lt_u32 s[58:59], v1, s[sgprSizeJ]            // coord1 < size1
s_and_b64 s[58:59], s[54:55], s[58:59]             // in0 && in1
_v_add_lshl_u32 v81, v2, v4, 0x1                   // scaleToBpe: accumulate d0 lower and *= bpe into Cin addr
v_cndmask_b32 v81, -1, v81, s[58:59]               // LDC clip if OOB. offset
_buffer_load_d16_b16 v82, v81, s[sgprSrdC:sgprSrdC+3], 0, offen offset:0,  sc0 sc1 // load C for beta calc
_v_add_lshl_u32 v81, v3, v4, 0x1                   // scaleToBpe: accumulate d0 lower and *= bpe into Cin addr
v_cndmask_b32 v81, -1, v81, s[58:59]               // LDD clip if OOB. offset
/* (d1,vc1,d0,vc0)=(6,2,4,0) */
s_mov_b32 s54, 128                                 // coordOffset0 d0=4 vc0=0
_v_add_co_u32 v4, vcc, v0, s54                     // coord0.2: coord0 += d0*sg0*VW + vc0
v_cmp_lt_u32 s[54:55], v4, s[sgprSizeI]            // coord0 < size0
v_cmp_lt_u32 s[58:59], v1, s[sgprSizeJ]            // coord1 < size1
s_and_b64 s[58:59], s[54:55], s[58:59]             // in0 && in1
_v_add_lshl_u32 v84, v2, v4, 0x1                   // scaleToBpe: accumulate d0 lower and *= bpe into Cin addr
v_cndmask_b32 v84, -1, v84, s[58:59]               // LDC clip if OOB. offset
_buffer_load_d16_b16 v85, v84, s[sgprSrdC:sgprSrdC+3], 0, offen offset:0,  sc0 sc1 // load C for beta calc
_v_add_lshl_u32 v84, v3, v4, 0x1                   // scaleToBpe: accumulate d0 lower and *= bpe into Cin addr
v_cndmask_b32 v84, -1, v84, s[58:59]               // LDD clip if OOB. offset
/* (d1,vc1,d0,vc0)=(6,2,5,0) */
s_mov_b32 s54, 160                                 // coordOffset0 d0=5 vc0=0
	;; [unrolled: 11-line block ×3, first 2 shown]
_v_add_co_u32 v4, vcc, v0, s54                     // coord0.2: coord0 += d0*sg0*VW + vc0
v_cmp_lt_u32 s[54:55], v4, s[sgprSizeI]            // coord0 < size0
v_cmp_lt_u32 s[58:59], v1, s[sgprSizeJ]            // coord1 < size1
s_and_b64 s[58:59], s[54:55], s[58:59]             // in0 && in1
_v_add_lshl_u32 v90, v2, v4, 0x1                   // scaleToBpe: accumulate d0 lower and *= bpe into Cin addr
v_cndmask_b32 v90, -1, v90, s[58:59]               // LDC clip if OOB. offset
_buffer_load_d16_b16 v91, v90, s[sgprSrdC:sgprSrdC+3], 0, offen offset:0,  sc0 sc1 // load C for beta calc
_v_add_lshl_u32 v90, v3, v4, 0x1                   // scaleToBpe: accumulate d0 lower and *= bpe into Cin addr
v_cndmask_b32 v90, -1, v90, s[58:59]               // LDD clip if OOB. offset
/* (d1,vc1,d0,vc0)=(6,3,0,0) */
_v_add_co_u32 v1, vcc, v1, 1                       // coord1.1: coord1Vgpr += d1*sg1*VW + vc1

/* Fix for UseInitialStridesCD, emitAddressSetupCode */
_v_add_u32 v2, v2, s[sgprStrideC1J]                // ROWINC- Move cinRowPtr to next row
_v_add_u32 v3, v3, s[sgprStrideD1J]                // Move coutRowPtr to next row
v_cmp_lt_u32 s[54:55], v0, s[sgprSizeI]            // coord0 < size0
v_cmp_lt_u32 s[58:59], v1, s[sgprSizeJ]            // coord1 < size1
s_and_b64 s[58:59], s[54:55], s[58:59]             // in0 && in1
_v_add_lshl_u32 v93, v2, v0, 0x1                   // scaleToBpe: accumulate d0 lower and *= bpe into Cin addr
v_cndmask_b32 v93, -1, v93, s[58:59]               // LDC clip if OOB. offset
_buffer_load_d16_b16 v94, v93, s[sgprSrdC:sgprSrdC+3], 0, offen offset:0,  sc0 sc1 // load C for beta calc
_v_add_lshl_u32 v93, v3, v0, 0x1                   // scaleToBpe: accumulate d0 lower and *= bpe into Cin addr
v_cndmask_b32 v93, -1, v93, s[58:59]               // LDD clip if OOB. offset
/* (d1,vc1,d0,vc0)=(6,3,1,0) */
_v_add_co_u32 v4, vcc, v0, 32                      // coord0.1: coord0 += d0*sg0*VW + vc0
v_cmp_lt_u32 s[54:55], v4, s[sgprSizeI]            // coord0 < size0
v_cmp_lt_u32 s[58:59], v1, s[sgprSizeJ]            // coord1 < size1
s_and_b64 s[58:59], s[54:55], s[58:59]             // in0 && in1
_v_add_lshl_u32 v96, v2, v4, 0x1                   // scaleToBpe: accumulate d0 lower and *= bpe into Cin addr
v_cndmask_b32 v96, -1, v96, s[58:59]               // LDC clip if OOB. offset
_buffer_load_d16_b16 v97, v96, s[sgprSrdC:sgprSrdC+3], 0, offen offset:0,  sc0 sc1 // load C for beta calc
_v_add_lshl_u32 v96, v3, v4, 0x1                   // scaleToBpe: accumulate d0 lower and *= bpe into Cin addr
v_cndmask_b32 v96, -1, v96, s[58:59]               // LDD clip if OOB. offset
/* (d1,vc1,d0,vc0)=(6,3,2,0) */
_v_add_co_u32 v4, vcc, v0, 64                      // coord0.1: coord0 += d0*sg0*VW + vc0
v_cmp_lt_u32 s[54:55], v4, s[sgprSizeI]            // coord0 < size0
v_cmp_lt_u32 s[58:59], v1, s[sgprSizeJ]            // coord1 < size1
s_and_b64 s[58:59], s[54:55], s[58:59]             // in0 && in1
_v_add_lshl_u32 v99, v2, v4, 0x1                   // scaleToBpe: accumulate d0 lower and *= bpe into Cin addr
v_cndmask_b32 v99, -1, v99, s[58:59]               // LDC clip if OOB. offset
_buffer_load_d16_b16 v100, v99, s[sgprSrdC:sgprSrdC+3], 0, offen offset:0,  sc0 sc1 // load C for beta calc
_v_add_lshl_u32 v99, v3, v4, 0x1                   // scaleToBpe: accumulate d0 lower and *= bpe into Cin addr
v_cndmask_b32 v99, -1, v99, s[58:59]               // LDD clip if OOB. offset
/* (d1,vc1,d0,vc0)=(6,3,3,0) */
s_mov_b32 s54, 96                                  // coordOffset0 d0=3 vc0=0
_v_add_co_u32 v4, vcc, v0, s54                     // coord0.2: coord0 += d0*sg0*VW + vc0
v_cmp_lt_u32 s[54:55], v4, s[sgprSizeI]            // coord0 < size0
v_cmp_lt_u32 s[58:59], v1, s[sgprSizeJ]            // coord1 < size1
s_and_b64 s[58:59], s[54:55], s[58:59]             // in0 && in1
_v_add_lshl_u32 v102, v2, v4, 0x1                  // scaleToBpe: accumulate d0 lower and *= bpe into Cin addr
v_cndmask_b32 v102, -1, v102, s[58:59]             // LDC clip if OOB. offset
_buffer_load_d16_b16 v103, v102, s[sgprSrdC:sgprSrdC+3], 0, offen offset:0,  sc0 sc1 // load C for beta calc
_v_add_lshl_u32 v102, v3, v4, 0x1                  // scaleToBpe: accumulate d0 lower and *= bpe into Cin addr
v_cndmask_b32 v102, -1, v102, s[58:59]             // LDD clip if OOB. offset
/* (d1,vc1,d0,vc0)=(6,3,4,0) */
s_mov_b32 s54, 128                                 // coordOffset0 d0=4 vc0=0
_v_add_co_u32 v4, vcc, v0, s54                     // coord0.2: coord0 += d0*sg0*VW + vc0
v_cmp_lt_u32 s[54:55], v4, s[sgprSizeI]            // coord0 < size0
v_cmp_lt_u32 s[58:59], v1, s[sgprSizeJ]            // coord1 < size1
s_and_b64 s[58:59], s[54:55], s[58:59]             // in0 && in1
_v_add_lshl_u32 v105, v2, v4, 0x1                  // scaleToBpe: accumulate d0 lower and *= bpe into Cin addr
v_cndmask_b32 v105, -1, v105, s[58:59]             // LDC clip if OOB. offset
_buffer_load_d16_b16 v106, v105, s[sgprSrdC:sgprSrdC+3], 0, offen offset:0,  sc0 sc1 // load C for beta calc
_v_add_lshl_u32 v105, v3, v4, 0x1                  // scaleToBpe: accumulate d0 lower and *= bpe into Cin addr
v_cndmask_b32 v105, -1, v105, s[58:59]             // LDD clip if OOB. offset
/* (d1,vc1,d0,vc0)=(6,3,5,0) */
s_mov_b32 s54, 160                                 // coordOffset0 d0=5 vc0=0
	;; [unrolled: 11-line block ×3, first 2 shown]
_v_add_co_u32 v4, vcc, v0, s54                     // coord0.2: coord0 += d0*sg0*VW + vc0
v_cmp_lt_u32 s[54:55], v4, s[sgprSizeI]            // coord0 < size0
v_cmp_lt_u32 s[58:59], v1, s[sgprSizeJ]            // coord1 < size1
s_and_b64 s[58:59], s[54:55], s[58:59]             // in0 && in1
_v_add_lshl_u32 v111, v2, v4, 0x1                  // scaleToBpe: accumulate d0 lower and *= bpe into Cin addr
v_cndmask_b32 v111, -1, v111, s[58:59]             // LDC clip if OOB. offset
_buffer_load_d16_b16 v112, v111, s[sgprSrdC:sgprSrdC+3], 0, offen offset:0,  sc0 sc1 // load C for beta calc
_v_add_lshl_u32 v111, v3, v4, 0x1                  // scaleToBpe: accumulate d0 lower and *= bpe into Cin addr
v_cndmask_b32 v111, -1, v111, s[58:59]             // LDD clip if OOB. offset
/* (d1,vc1,d0,vc0)=(7,0,0,0) */
_v_add_co_u32 v1, vcc, v1, 29                      // coord1.1: coord1Vgpr += d1*sg1*VW + vc1

/* Fix for UseInitialStridesCD, emitAddressSetupCode */
s_mul_i32 s54, s[sgprStrideC1J], 29                // scale stride
_v_add_u32 v2, v2, s54                             // ROWINC- Move cinRowPtr to next row
s_mul_i32 s54, s[sgprStrideD1J], 29                // scale stride
_v_add_u32 v3, v3, s54                             // Move coutRowPtr to next row
v_cmp_lt_u32 s[54:55], v0, s[sgprSizeI]            // coord0 < size0
v_cmp_lt_u32 s[58:59], v1, s[sgprSizeJ]            // coord1 < size1
s_and_b64 s[58:59], s[54:55], s[58:59]             // in0 && in1
_v_add_lshl_u32 v114, v2, v0, 0x1                  // scaleToBpe: accumulate d0 lower and *= bpe into Cin addr
v_cndmask_b32 v114, -1, v114, s[58:59]             // LDC clip if OOB. offset
_buffer_load_d16_b16 v115, v114, s[sgprSrdC:sgprSrdC+3], 0, offen offset:0,  sc0 sc1 // load C for beta calc
_v_add_lshl_u32 v114, v3, v0, 0x1                  // scaleToBpe: accumulate d0 lower and *= bpe into Cin addr
v_cndmask_b32 v114, -1, v114, s[58:59]             // LDD clip if OOB. offset
/* (d1,vc1,d0,vc0)=(7,0,1,0) */
_v_add_co_u32 v4, vcc, v0, 32                      // coord0.1: coord0 += d0*sg0*VW + vc0
v_cmp_lt_u32 s[54:55], v4, s[sgprSizeI]            // coord0 < size0
v_cmp_lt_u32 s[58:59], v1, s[sgprSizeJ]            // coord1 < size1
s_and_b64 s[58:59], s[54:55], s[58:59]             // in0 && in1
_v_add_lshl_u32 v117, v2, v4, 0x1                  // scaleToBpe: accumulate d0 lower and *= bpe into Cin addr
v_cndmask_b32 v117, -1, v117, s[58:59]             // LDC clip if OOB. offset
_buffer_load_d16_b16 v118, v117, s[sgprSrdC:sgprSrdC+3], 0, offen offset:0,  sc0 sc1 // load C for beta calc
_v_add_lshl_u32 v117, v3, v4, 0x1                  // scaleToBpe: accumulate d0 lower and *= bpe into Cin addr
v_cndmask_b32 v117, -1, v117, s[58:59]             // LDD clip if OOB. offset
/* (d1,vc1,d0,vc0)=(7,0,2,0) */
_v_add_co_u32 v4, vcc, v0, 64                      // coord0.1: coord0 += d0*sg0*VW + vc0
v_cmp_lt_u32 s[54:55], v4, s[sgprSizeI]            // coord0 < size0
v_cmp_lt_u32 s[58:59], v1, s[sgprSizeJ]            // coord1 < size1
s_and_b64 s[58:59], s[54:55], s[58:59]             // in0 && in1
_v_add_lshl_u32 v120, v2, v4, 0x1                  // scaleToBpe: accumulate d0 lower and *= bpe into Cin addr
v_cndmask_b32 v120, -1, v120, s[58:59]             // LDC clip if OOB. offset
_buffer_load_d16_b16 v121, v120, s[sgprSrdC:sgprSrdC+3], 0, offen offset:0,  sc0 sc1 // load C for beta calc
_v_add_lshl_u32 v120, v3, v4, 0x1                  // scaleToBpe: accumulate d0 lower and *= bpe into Cin addr
v_cndmask_b32 v120, -1, v120, s[58:59]             // LDD clip if OOB. offset
/* (d1,vc1,d0,vc0)=(7,0,3,0) */
s_mov_b32 s54, 96                                  // coordOffset0 d0=3 vc0=0
_v_add_co_u32 v4, vcc, v0, s54                     // coord0.2: coord0 += d0*sg0*VW + vc0
v_cmp_lt_u32 s[54:55], v4, s[sgprSizeI]            // coord0 < size0
v_cmp_lt_u32 s[58:59], v1, s[sgprSizeJ]            // coord1 < size1
s_and_b64 s[58:59], s[54:55], s[58:59]             // in0 && in1
_v_add_lshl_u32 v123, v2, v4, 0x1                  // scaleToBpe: accumulate d0 lower and *= bpe into Cin addr
v_cndmask_b32 v123, -1, v123, s[58:59]             // LDC clip if OOB. offset
_buffer_load_d16_b16 v124, v123, s[sgprSrdC:sgprSrdC+3], 0, offen offset:0,  sc0 sc1 // load C for beta calc
_v_add_lshl_u32 v123, v3, v4, 0x1                  // scaleToBpe: accumulate d0 lower and *= bpe into Cin addr
v_cndmask_b32 v123, -1, v123, s[58:59]             // LDD clip if OOB. offset
/* (d1,vc1,d0,vc0)=(7,0,4,0) */
s_mov_b32 s54, 128                                 // coordOffset0 d0=4 vc0=0
_v_add_co_u32 v4, vcc, v0, s54                     // coord0.2: coord0 += d0*sg0*VW + vc0
v_cmp_lt_u32 s[54:55], v4, s[sgprSizeI]            // coord0 < size0
v_cmp_lt_u32 s[58:59], v1, s[sgprSizeJ]            // coord1 < size1
s_and_b64 s[58:59], s[54:55], s[58:59]             // in0 && in1
_v_add_lshl_u32 v126, v2, v4, 0x1                  // scaleToBpe: accumulate d0 lower and *= bpe into Cin addr
v_cndmask_b32 v126, -1, v126, s[58:59]             // LDC clip if OOB. offset
_buffer_load_d16_b16 v127, v126, s[sgprSrdC:sgprSrdC+3], 0, offen offset:0,  sc0 sc1 // load C for beta calc
_v_add_lshl_u32 v126, v3, v4, 0x1                  // scaleToBpe: accumulate d0 lower and *= bpe into Cin addr
v_cndmask_b32 v126, -1, v126, s[58:59]             // LDD clip if OOB. offset
/* (d1,vc1,d0,vc0)=(7,0,5,0) */
s_mov_b32 s54, 160                                 // coordOffset0 d0=5 vc0=0
	;; [unrolled: 11-line block ×3, first 2 shown]
_v_add_co_u32 v4, vcc, v0, s54                     // coord0.2: coord0 += d0*sg0*VW + vc0
v_cmp_lt_u32 s[54:55], v4, s[sgprSizeI]            // coord0 < size0
v_cmp_lt_u32 s[58:59], v1, s[sgprSizeJ]            // coord1 < size1
s_and_b64 s[58:59], s[54:55], s[58:59]             // in0 && in1
_v_add_lshl_u32 v132, v2, v4, 0x1                  // scaleToBpe: accumulate d0 lower and *= bpe into Cin addr
v_cndmask_b32 v132, -1, v132, s[58:59]             // LDC clip if OOB. offset
_buffer_load_d16_b16 v133, v132, s[sgprSrdC:sgprSrdC+3], 0, offen offset:0,  sc0 sc1 // load C for beta calc
_v_add_lshl_u32 v132, v3, v4, 0x1                  // scaleToBpe: accumulate d0 lower and *= bpe into Cin addr
v_cndmask_b32 v132, -1, v132, s[58:59]             // LDD clip if OOB. offset
/* (d1,vc1,d0,vc0)=(7,1,0,0) */
_v_add_co_u32 v1, vcc, v1, 1                       // coord1.1: coord1Vgpr += d1*sg1*VW + vc1

/* Fix for UseInitialStridesCD, emitAddressSetupCode */
_v_add_u32 v2, v2, s[sgprStrideC1J]                // ROWINC- Move cinRowPtr to next row
_v_add_u32 v3, v3, s[sgprStrideD1J]                // Move coutRowPtr to next row
v_cmp_lt_u32 s[54:55], v0, s[sgprSizeI]            // coord0 < size0
v_cmp_lt_u32 s[58:59], v1, s[sgprSizeJ]            // coord1 < size1
s_and_b64 s[58:59], s[54:55], s[58:59]             // in0 && in1
_v_add_lshl_u32 v135, v2, v0, 0x1                  // scaleToBpe: accumulate d0 lower and *= bpe into Cin addr
v_cndmask_b32 v135, -1, v135, s[58:59]             // LDC clip if OOB. offset
_buffer_load_d16_b16 v136, v135, s[sgprSrdC:sgprSrdC+3], 0, offen offset:0,  sc0 sc1 // load C for beta calc
_v_add_lshl_u32 v135, v3, v0, 0x1                  // scaleToBpe: accumulate d0 lower and *= bpe into Cin addr
v_cndmask_b32 v135, -1, v135, s[58:59]             // LDD clip if OOB. offset
/* (d1,vc1,d0,vc0)=(7,1,1,0) */
_v_add_co_u32 v4, vcc, v0, 32                      // coord0.1: coord0 += d0*sg0*VW + vc0
v_cmp_lt_u32 s[54:55], v4, s[sgprSizeI]            // coord0 < size0
v_cmp_lt_u32 s[58:59], v1, s[sgprSizeJ]            // coord1 < size1
s_and_b64 s[58:59], s[54:55], s[58:59]             // in0 && in1
_v_add_lshl_u32 v138, v2, v4, 0x1                  // scaleToBpe: accumulate d0 lower and *= bpe into Cin addr
v_cndmask_b32 v138, -1, v138, s[58:59]             // LDC clip if OOB. offset
_buffer_load_d16_b16 v139, v138, s[sgprSrdC:sgprSrdC+3], 0, offen offset:0,  sc0 sc1 // load C for beta calc
_v_add_lshl_u32 v138, v3, v4, 0x1                  // scaleToBpe: accumulate d0 lower and *= bpe into Cin addr
v_cndmask_b32 v138, -1, v138, s[58:59]             // LDD clip if OOB. offset
/* (d1,vc1,d0,vc0)=(7,1,2,0) */
_v_add_co_u32 v4, vcc, v0, 64                      // coord0.1: coord0 += d0*sg0*VW + vc0
v_cmp_lt_u32 s[54:55], v4, s[sgprSizeI]            // coord0 < size0
v_cmp_lt_u32 s[58:59], v1, s[sgprSizeJ]            // coord1 < size1
s_and_b64 s[58:59], s[54:55], s[58:59]             // in0 && in1
_v_add_lshl_u32 v141, v2, v4, 0x1                  // scaleToBpe: accumulate d0 lower and *= bpe into Cin addr
v_cndmask_b32 v141, -1, v141, s[58:59]             // LDC clip if OOB. offset
_buffer_load_d16_b16 v142, v141, s[sgprSrdC:sgprSrdC+3], 0, offen offset:0,  sc0 sc1 // load C for beta calc
_v_add_lshl_u32 v141, v3, v4, 0x1                  // scaleToBpe: accumulate d0 lower and *= bpe into Cin addr
v_cndmask_b32 v141, -1, v141, s[58:59]             // LDD clip if OOB. offset
/* (d1,vc1,d0,vc0)=(7,1,3,0) */
s_mov_b32 s54, 96                                  // coordOffset0 d0=3 vc0=0
_v_add_co_u32 v4, vcc, v0, s54                     // coord0.2: coord0 += d0*sg0*VW + vc0
v_cmp_lt_u32 s[54:55], v4, s[sgprSizeI]            // coord0 < size0
v_cmp_lt_u32 s[58:59], v1, s[sgprSizeJ]            // coord1 < size1
s_and_b64 s[58:59], s[54:55], s[58:59]             // in0 && in1
_v_add_lshl_u32 v144, v2, v4, 0x1                  // scaleToBpe: accumulate d0 lower and *= bpe into Cin addr
v_cndmask_b32 v144, -1, v144, s[58:59]             // LDC clip if OOB. offset
_buffer_load_d16_b16 v145, v144, s[sgprSrdC:sgprSrdC+3], 0, offen offset:0,  sc0 sc1 // load C for beta calc
_v_add_lshl_u32 v144, v3, v4, 0x1                  // scaleToBpe: accumulate d0 lower and *= bpe into Cin addr
v_cndmask_b32 v144, -1, v144, s[58:59]             // LDD clip if OOB. offset
/* (d1,vc1,d0,vc0)=(7,1,4,0) */
s_mov_b32 s54, 128                                 // coordOffset0 d0=4 vc0=0
_v_add_co_u32 v4, vcc, v0, s54                     // coord0.2: coord0 += d0*sg0*VW + vc0
v_cmp_lt_u32 s[54:55], v4, s[sgprSizeI]            // coord0 < size0
v_cmp_lt_u32 s[58:59], v1, s[sgprSizeJ]            // coord1 < size1
s_and_b64 s[58:59], s[54:55], s[58:59]             // in0 && in1
_v_add_lshl_u32 v147, v2, v4, 0x1                  // scaleToBpe: accumulate d0 lower and *= bpe into Cin addr
v_cndmask_b32 v147, -1, v147, s[58:59]             // LDC clip if OOB. offset
_buffer_load_d16_b16 v148, v147, s[sgprSrdC:sgprSrdC+3], 0, offen offset:0,  sc0 sc1 // load C for beta calc
_v_add_lshl_u32 v147, v3, v4, 0x1                  // scaleToBpe: accumulate d0 lower and *= bpe into Cin addr
v_cndmask_b32 v147, -1, v147, s[58:59]             // LDD clip if OOB. offset
/* (d1,vc1,d0,vc0)=(7,1,5,0) */
s_mov_b32 s54, 160                                 // coordOffset0 d0=5 vc0=0
	;; [unrolled: 11-line block ×3, first 2 shown]
_v_add_co_u32 v4, vcc, v0, s54                     // coord0.2: coord0 += d0*sg0*VW + vc0
v_cmp_lt_u32 s[54:55], v4, s[sgprSizeI]            // coord0 < size0
v_cmp_lt_u32 s[58:59], v1, s[sgprSizeJ]            // coord1 < size1
s_and_b64 s[58:59], s[54:55], s[58:59]             // in0 && in1
_v_add_lshl_u32 v153, v2, v4, 0x1                  // scaleToBpe: accumulate d0 lower and *= bpe into Cin addr
v_cndmask_b32 v153, -1, v153, s[58:59]             // LDC clip if OOB. offset
_buffer_load_d16_b16 v154, v153, s[sgprSrdC:sgprSrdC+3], 0, offen offset:0,  sc0 sc1 // load C for beta calc
_v_add_lshl_u32 v153, v3, v4, 0x1                  // scaleToBpe: accumulate d0 lower and *= bpe into Cin addr
v_cndmask_b32 v153, -1, v153, s[58:59]             // LDD clip if OOB. offset
/* (d1,vc1,d0,vc0)=(7,2,0,0) */
_v_add_co_u32 v1, vcc, v1, 1                       // coord1.1: coord1Vgpr += d1*sg1*VW + vc1

/* Fix for UseInitialStridesCD, emitAddressSetupCode */
_v_add_u32 v2, v2, s[sgprStrideC1J]                // ROWINC- Move cinRowPtr to next row
_v_add_u32 v3, v3, s[sgprStrideD1J]                // Move coutRowPtr to next row
v_cmp_lt_u32 s[54:55], v0, s[sgprSizeI]            // coord0 < size0
v_cmp_lt_u32 s[58:59], v1, s[sgprSizeJ]            // coord1 < size1
s_and_b64 s[58:59], s[54:55], s[58:59]             // in0 && in1
_v_add_lshl_u32 v156, v2, v0, 0x1                  // scaleToBpe: accumulate d0 lower and *= bpe into Cin addr
v_cndmask_b32 v156, -1, v156, s[58:59]             // LDC clip if OOB. offset
_buffer_load_d16_b16 v157, v156, s[sgprSrdC:sgprSrdC+3], 0, offen offset:0,  sc0 sc1 // load C for beta calc
_v_add_lshl_u32 v156, v3, v0, 0x1                  // scaleToBpe: accumulate d0 lower and *= bpe into Cin addr
v_cndmask_b32 v156, -1, v156, s[58:59]             // LDD clip if OOB. offset
/* (d1,vc1,d0,vc0)=(7,2,1,0) */
_v_add_co_u32 v4, vcc, v0, 32                      // coord0.1: coord0 += d0*sg0*VW + vc0
v_cmp_lt_u32 s[54:55], v4, s[sgprSizeI]            // coord0 < size0
v_cmp_lt_u32 s[58:59], v1, s[sgprSizeJ]            // coord1 < size1
s_and_b64 s[58:59], s[54:55], s[58:59]             // in0 && in1
_v_add_lshl_u32 v159, v2, v4, 0x1                  // scaleToBpe: accumulate d0 lower and *= bpe into Cin addr
v_cndmask_b32 v159, -1, v159, s[58:59]             // LDC clip if OOB. offset
_buffer_load_d16_b16 v160, v159, s[sgprSrdC:sgprSrdC+3], 0, offen offset:0,  sc0 sc1 // load C for beta calc
_v_add_lshl_u32 v159, v3, v4, 0x1                  // scaleToBpe: accumulate d0 lower and *= bpe into Cin addr
v_cndmask_b32 v159, -1, v159, s[58:59]             // LDD clip if OOB. offset
/* (d1,vc1,d0,vc0)=(7,2,2,0) */
_v_add_co_u32 v4, vcc, v0, 64                      // coord0.1: coord0 += d0*sg0*VW + vc0
v_cmp_lt_u32 s[54:55], v4, s[sgprSizeI]            // coord0 < size0
v_cmp_lt_u32 s[58:59], v1, s[sgprSizeJ]            // coord1 < size1
s_and_b64 s[58:59], s[54:55], s[58:59]             // in0 && in1
_v_add_lshl_u32 v162, v2, v4, 0x1                  // scaleToBpe: accumulate d0 lower and *= bpe into Cin addr
v_cndmask_b32 v162, -1, v162, s[58:59]             // LDC clip if OOB. offset
_buffer_load_d16_b16 v163, v162, s[sgprSrdC:sgprSrdC+3], 0, offen offset:0,  sc0 sc1 // load C for beta calc
_v_add_lshl_u32 v162, v3, v4, 0x1                  // scaleToBpe: accumulate d0 lower and *= bpe into Cin addr
v_cndmask_b32 v162, -1, v162, s[58:59]             // LDD clip if OOB. offset
/* (d1,vc1,d0,vc0)=(7,2,3,0) */
s_mov_b32 s54, 96                                  // coordOffset0 d0=3 vc0=0
_v_add_co_u32 v4, vcc, v0, s54                     // coord0.2: coord0 += d0*sg0*VW + vc0
v_cmp_lt_u32 s[54:55], v4, s[sgprSizeI]            // coord0 < size0
v_cmp_lt_u32 s[58:59], v1, s[sgprSizeJ]            // coord1 < size1
s_and_b64 s[58:59], s[54:55], s[58:59]             // in0 && in1
_v_add_lshl_u32 v165, v2, v4, 0x1                  // scaleToBpe: accumulate d0 lower and *= bpe into Cin addr
v_cndmask_b32 v165, -1, v165, s[58:59]             // LDC clip if OOB. offset
_buffer_load_d16_b16 v166, v165, s[sgprSrdC:sgprSrdC+3], 0, offen offset:0,  sc0 sc1 // load C for beta calc
_v_add_lshl_u32 v165, v3, v4, 0x1                  // scaleToBpe: accumulate d0 lower and *= bpe into Cin addr
v_cndmask_b32 v165, -1, v165, s[58:59]             // LDD clip if OOB. offset
/* (d1,vc1,d0,vc0)=(7,2,4,0) */
s_mov_b32 s54, 128                                 // coordOffset0 d0=4 vc0=0
_v_add_co_u32 v4, vcc, v0, s54                     // coord0.2: coord0 += d0*sg0*VW + vc0
v_cmp_lt_u32 s[54:55], v4, s[sgprSizeI]            // coord0 < size0
v_cmp_lt_u32 s[58:59], v1, s[sgprSizeJ]            // coord1 < size1
s_and_b64 s[58:59], s[54:55], s[58:59]             // in0 && in1
_v_add_lshl_u32 v168, v2, v4, 0x1                  // scaleToBpe: accumulate d0 lower and *= bpe into Cin addr
v_cndmask_b32 v168, -1, v168, s[58:59]             // LDC clip if OOB. offset
_buffer_load_d16_b16 v169, v168, s[sgprSrdC:sgprSrdC+3], 0, offen offset:0,  sc0 sc1 // load C for beta calc
_v_add_lshl_u32 v168, v3, v4, 0x1                  // scaleToBpe: accumulate d0 lower and *= bpe into Cin addr
v_cndmask_b32 v168, -1, v168, s[58:59]             // LDD clip if OOB. offset
/* (d1,vc1,d0,vc0)=(7,2,5,0) */
s_mov_b32 s54, 160                                 // coordOffset0 d0=5 vc0=0
	;; [unrolled: 11-line block ×3, first 2 shown]
_v_add_co_u32 v4, vcc, v0, s54                     // coord0.2: coord0 += d0*sg0*VW + vc0
v_cmp_lt_u32 s[54:55], v4, s[sgprSizeI]            // coord0 < size0
v_cmp_lt_u32 s[58:59], v1, s[sgprSizeJ]            // coord1 < size1
s_and_b64 s[58:59], s[54:55], s[58:59]             // in0 && in1
_v_add_lshl_u32 v174, v2, v4, 0x1                  // scaleToBpe: accumulate d0 lower and *= bpe into Cin addr
v_cndmask_b32 v174, -1, v174, s[58:59]             // LDC clip if OOB. offset
_buffer_load_d16_b16 v175, v174, s[sgprSrdC:sgprSrdC+3], 0, offen offset:0,  sc0 sc1 // load C for beta calc
_v_add_lshl_u32 v174, v3, v4, 0x1                  // scaleToBpe: accumulate d0 lower and *= bpe into Cin addr
v_cndmask_b32 v174, -1, v174, s[58:59]             // LDD clip if OOB. offset
/* (d1,vc1,d0,vc0)=(7,3,0,0) */
_v_add_co_u32 v1, vcc, v1, 1                       // coord1.1: coord1Vgpr += d1*sg1*VW + vc1

/* Fix for UseInitialStridesCD, emitAddressSetupCode */
_v_add_u32 v2, v2, s[sgprStrideC1J]                // ROWINC- Move cinRowPtr to next row
_v_add_u32 v3, v3, s[sgprStrideD1J]                // Move coutRowPtr to next row
v_cmp_lt_u32 s[54:55], v0, s[sgprSizeI]            // coord0 < size0
v_cmp_lt_u32 s[58:59], v1, s[sgprSizeJ]            // coord1 < size1
s_and_b64 s[58:59], s[54:55], s[58:59]             // in0 && in1
_v_add_lshl_u32 v177, v2, v0, 0x1                  // scaleToBpe: accumulate d0 lower and *= bpe into Cin addr
v_cndmask_b32 v177, -1, v177, s[58:59]             // LDC clip if OOB. offset
_buffer_load_d16_b16 v178, v177, s[sgprSrdC:sgprSrdC+3], 0, offen offset:0,  sc0 sc1 // load C for beta calc
_v_add_lshl_u32 v177, v3, v0, 0x1                  // scaleToBpe: accumulate d0 lower and *= bpe into Cin addr
v_cndmask_b32 v177, -1, v177, s[58:59]             // LDD clip if OOB. offset
/* (d1,vc1,d0,vc0)=(7,3,1,0) */
_v_add_co_u32 v4, vcc, v0, 32                      // coord0.1: coord0 += d0*sg0*VW + vc0
v_cmp_lt_u32 s[54:55], v4, s[sgprSizeI]            // coord0 < size0
v_cmp_lt_u32 s[58:59], v1, s[sgprSizeJ]            // coord1 < size1
s_and_b64 s[58:59], s[54:55], s[58:59]             // in0 && in1
_v_add_lshl_u32 v180, v2, v4, 0x1                  // scaleToBpe: accumulate d0 lower and *= bpe into Cin addr
v_cndmask_b32 v180, -1, v180, s[58:59]             // LDC clip if OOB. offset
_buffer_load_d16_b16 v181, v180, s[sgprSrdC:sgprSrdC+3], 0, offen offset:0,  sc0 sc1 // load C for beta calc
_v_add_lshl_u32 v180, v3, v4, 0x1                  // scaleToBpe: accumulate d0 lower and *= bpe into Cin addr
v_cndmask_b32 v180, -1, v180, s[58:59]             // LDD clip if OOB. offset
/* (d1,vc1,d0,vc0)=(7,3,2,0) */
_v_add_co_u32 v4, vcc, v0, 64                      // coord0.1: coord0 += d0*sg0*VW + vc0
v_cmp_lt_u32 s[54:55], v4, s[sgprSizeI]            // coord0 < size0
v_cmp_lt_u32 s[58:59], v1, s[sgprSizeJ]            // coord1 < size1
s_and_b64 s[58:59], s[54:55], s[58:59]             // in0 && in1
_v_add_lshl_u32 v183, v2, v4, 0x1                  // scaleToBpe: accumulate d0 lower and *= bpe into Cin addr
v_cndmask_b32 v183, -1, v183, s[58:59]             // LDC clip if OOB. offset
_buffer_load_d16_b16 v184, v183, s[sgprSrdC:sgprSrdC+3], 0, offen offset:0,  sc0 sc1 // load C for beta calc
_v_add_lshl_u32 v183, v3, v4, 0x1                  // scaleToBpe: accumulate d0 lower and *= bpe into Cin addr
v_cndmask_b32 v183, -1, v183, s[58:59]             // LDD clip if OOB. offset
/* (d1,vc1,d0,vc0)=(7,3,3,0) */
s_mov_b32 s54, 96                                  // coordOffset0 d0=3 vc0=0
_v_add_co_u32 v4, vcc, v0, s54                     // coord0.2: coord0 += d0*sg0*VW + vc0
v_cmp_lt_u32 s[54:55], v4, s[sgprSizeI]            // coord0 < size0
v_cmp_lt_u32 s[58:59], v1, s[sgprSizeJ]            // coord1 < size1
s_and_b64 s[58:59], s[54:55], s[58:59]             // in0 && in1
_v_add_lshl_u32 v186, v2, v4, 0x1                  // scaleToBpe: accumulate d0 lower and *= bpe into Cin addr
v_cndmask_b32 v186, -1, v186, s[58:59]             // LDC clip if OOB. offset
_buffer_load_d16_b16 v187, v186, s[sgprSrdC:sgprSrdC+3], 0, offen offset:0,  sc0 sc1 // load C for beta calc
_v_add_lshl_u32 v186, v3, v4, 0x1                  // scaleToBpe: accumulate d0 lower and *= bpe into Cin addr
v_cndmask_b32 v186, -1, v186, s[58:59]             // LDD clip if OOB. offset
/* (d1,vc1,d0,vc0)=(7,3,4,0) */
s_mov_b32 s54, 128                                 // coordOffset0 d0=4 vc0=0
_v_add_co_u32 v4, vcc, v0, s54                     // coord0.2: coord0 += d0*sg0*VW + vc0
v_cmp_lt_u32 s[54:55], v4, s[sgprSizeI]            // coord0 < size0
v_cmp_lt_u32 s[58:59], v1, s[sgprSizeJ]            // coord1 < size1
s_and_b64 s[58:59], s[54:55], s[58:59]             // in0 && in1
_v_add_lshl_u32 v189, v2, v4, 0x1                  // scaleToBpe: accumulate d0 lower and *= bpe into Cin addr
v_cndmask_b32 v189, -1, v189, s[58:59]             // LDC clip if OOB. offset
_buffer_load_d16_b16 v190, v189, s[sgprSrdC:sgprSrdC+3], 0, offen offset:0,  sc0 sc1 // load C for beta calc
_v_add_lshl_u32 v189, v3, v4, 0x1                  // scaleToBpe: accumulate d0 lower and *= bpe into Cin addr
v_cndmask_b32 v189, -1, v189, s[58:59]             // LDD clip if OOB. offset
/* (d1,vc1,d0,vc0)=(7,3,5,0) */
s_mov_b32 s54, 160                                 // coordOffset0 d0=5 vc0=0
	;; [unrolled: 11-line block ×3, first 2 shown]
_v_add_co_u32 v4, vcc, v0, s54                     // coord0.2: coord0 += d0*sg0*VW + vc0
v_cmp_lt_u32 s[54:55], v4, s[sgprSizeI]            // coord0 < size0
v_cmp_lt_u32 s[58:59], v1, s[sgprSizeJ]            // coord1 < size1
s_and_b64 s[58:59], s[54:55], s[58:59]             // in0 && in1
_v_add_lshl_u32 v195, v2, v4, 0x1                  // scaleToBpe: accumulate d0 lower and *= bpe into Cin addr
v_cndmask_b32 v195, -1, v195, s[58:59]             // LDC clip if OOB. offset
_buffer_load_d16_b16 v196, v195, s[sgprSrdC:sgprSrdC+3], 0, offen offset:0,  sc0 sc1 // load C for beta calc
_v_add_lshl_u32 v195, v3, v4, 0x1                  // scaleToBpe: accumulate d0 lower and *= bpe into Cin addr
v_cndmask_b32 v195, -1, v195, s[58:59]             // LDD clip if OOB. offset
s_sleep 5 // optimization: sync and wait
s_barrier
v_accvgpr_read_b32 v[vgprValuC+8], acc166 // copy acc to vreg[160]
v_accvgpr_read_b32 v[vgprValuC+11], acc143 // copy acc to vreg[161]
v_accvgpr_read_b32 v[vgprValuC+14], acc147 // copy acc to vreg[162]
v_accvgpr_read_b32 v[vgprValuC+17], acc151 // copy acc to vreg[163]
v_accvgpr_read_b32 v[vgprValuC+20], acc155 // copy acc to vreg[164]
v_accvgpr_read_b32 v[vgprValuC+23], acc159 // copy acc to vreg[165]
v_accvgpr_read_b32 v[vgprValuC+26], acc163 // copy acc to vreg[166]
v_accvgpr_read_b32 v[vgprValuC+29], acc167 // copy acc to vreg[167]
v_accvgpr_read_b32 v[vgprValuC+32], acc168 // copy acc to vreg[168]
v_accvgpr_read_b32 v[vgprValuC+35], acc172 // copy acc to vreg[169]
v_accvgpr_read_b32 v[vgprValuC+38], acc176 // copy acc to vreg[170]
v_accvgpr_read_b32 v[vgprValuC+41], acc180 // copy acc to vreg[171]
v_accvgpr_read_b32 v[vgprValuC+44], acc184 // copy acc to vreg[172]
v_accvgpr_read_b32 v[vgprValuC+47], acc188 // copy acc to vreg[173]
v_accvgpr_read_b32 v[vgprValuC+50], acc192 // copy acc to vreg[174]
v_accvgpr_read_b32 v[vgprValuC+53], acc169 // copy acc to vreg[175]
v_accvgpr_read_b32 v[vgprValuC+56], acc173 // copy acc to vreg[176]
v_accvgpr_read_b32 v[vgprValuC+59], acc177 // copy acc to vreg[177]
v_accvgpr_read_b32 v[vgprValuC+62], acc181 // copy acc to vreg[178]
v_accvgpr_read_b32 v[vgprValuC+65], acc185 // copy acc to vreg[179]
v_accvgpr_read_b32 v[vgprValuC+68], acc189 // copy acc to vreg[180]
v_accvgpr_read_b32 v[vgprValuC+71], acc193 // copy acc to vreg[181]
v_accvgpr_read_b32 v[vgprValuC+74], acc170 // copy acc to vreg[182]
v_accvgpr_read_b32 v[vgprValuC+77], acc174 // copy acc to vreg[183]
v_accvgpr_read_b32 v[vgprValuC+80], acc178 // copy acc to vreg[184]
v_accvgpr_read_b32 v[vgprValuC+83], acc182 // copy acc to vreg[185]
v_accvgpr_read_b32 v[vgprValuC+86], acc186 // copy acc to vreg[186]
v_accvgpr_read_b32 v[vgprValuC+89], acc190 // copy acc to vreg[187]
v_accvgpr_read_b32 v[vgprValuC+92], acc194 // copy acc to vreg[188]
v_accvgpr_read_b32 v[vgprValuC+95], acc171 // copy acc to vreg[189]
v_accvgpr_read_b32 v[vgprValuC+98], acc175 // copy acc to vreg[190]
v_accvgpr_read_b32 v[vgprValuC+101], acc179 // copy acc to vreg[191]
v_accvgpr_read_b32 v[vgprValuC+104], acc183 // copy acc to vreg[192]
v_accvgpr_read_b32 v[vgprValuC+107], acc187 // copy acc to vreg[193]
v_accvgpr_read_b32 v[vgprValuC+110], acc191 // copy acc to vreg[194]
v_accvgpr_read_b32 v[vgprValuC+113], acc195 // copy acc to vreg[195]
v_accvgpr_read_b32 v[vgprValuC+116], acc196 // copy acc to vreg[196]
v_accvgpr_read_b32 v[vgprValuC+119], acc200 // copy acc to vreg[197]
v_accvgpr_read_b32 v[vgprValuC+122], acc204 // copy acc to vreg[198]
v_accvgpr_read_b32 v[vgprValuC+125], acc208 // copy acc to vreg[199]
v_accvgpr_read_b32 v[vgprValuC+128], acc212 // copy acc to vreg[200]
v_accvgpr_read_b32 v[vgprValuC+131], acc216 // copy acc to vreg[201]
v_accvgpr_read_b32 v[vgprValuC+134], acc220 // copy acc to vreg[202]
v_accvgpr_read_b32 v[vgprValuC+137], acc197 // copy acc to vreg[203]
v_accvgpr_read_b32 v[vgprValuC+140], acc201 // copy acc to vreg[204]
v_accvgpr_read_b32 v[vgprValuC+143], acc205 // copy acc to vreg[205]
v_accvgpr_read_b32 v[vgprValuC+146], acc209 // copy acc to vreg[206]
v_accvgpr_read_b32 v[vgprValuC+149], acc213 // copy acc to vreg[207]
v_accvgpr_read_b32 v[vgprValuC+152], acc217 // copy acc to vreg[208]
v_accvgpr_read_b32 v[vgprValuC+155], acc221 // copy acc to vreg[209]
v_accvgpr_read_b32 v[vgprValuC+158], acc198 // copy acc to vreg[210]
v_accvgpr_read_b32 v[vgprValuC+161], acc202 // copy acc to vreg[211]
v_accvgpr_read_b32 v[vgprValuC+164], acc206 // copy acc to vreg[212]
v_accvgpr_read_b32 v[vgprValuC+167], acc210 // copy acc to vreg[213]
v_accvgpr_read_b32 v[vgprValuC+170], acc214 // copy acc to vreg[214]
v_accvgpr_read_b32 v[vgprValuC+173], acc218 // copy acc to vreg[215]
v_accvgpr_read_b32 v[vgprValuC+176], acc222 // copy acc to vreg[216]
v_accvgpr_read_b32 v[vgprValuC+179], acc199 // copy acc to vreg[217]
v_accvgpr_read_b32 v[vgprValuC+182], acc203 // copy acc to vreg[218]
v_accvgpr_read_b32 v[vgprValuC+185], acc207 // copy acc to vreg[219]
v_accvgpr_read_b32 v[vgprValuC+188], acc211 // copy acc to vreg[220]
v_accvgpr_read_b32 v[vgprValuC+191], acc215 // copy acc to vreg[221]
v_accvgpr_read_b32 v[vgprValuC+194], acc219 // copy acc to vreg[222]
v_accvgpr_read_b32 v[vgprValuC+197], acc223 // copy acc to vreg[223]
s_nop 1                                            // 2 wait states required before reading vgpr

/* rC *= alpha batchElements=[(5, 6, 2, 0), (5, 0, 3, 0), (5, 1, 3, 0), (5, 2, 3, 0), (5, 3, 3, 0), (5, 4, 3, 0), (5, 5, 3, 0), (5, 6, 3, 0), (6, 0, 0, 0), (6, 1, 0, 0), (6, 2, 0, 0), (6, 3, 0, 0), (6, 4, 0, 0), (6, 5, 0, 0), (6, 6, 0, 0), (6, 0, 1, 0), (6, 1, 1, 0), (6, 2, 1, 0), (6, 3, 1, 0), (6, 4, 1, 0), (6, 5, 1, 0), (6, 6, 1, 0), (6, 0, 2, 0), (6, 1, 2, 0), (6, 2, 2, 0), (6, 3, 2, 0), (6, 4, 2, 0), (6, 5, 2, 0), (6, 6, 2, 0), (6, 0, 3, 0), (6, 1, 3, 0), (6, 2, 3, 0), (6, 3, 3, 0), (6, 4, 3, 0), (6, 5, 3, 0), (6, 6, 3, 0), (7, 0, 0, 0), (7, 1, 0, 0), (7, 2, 0, 0), (7, 3, 0, 0), (7, 4, 0, 0), (7, 5, 0, 0), (7, 6, 0, 0), (7, 0, 1, 0), (7, 1, 1, 0), (7, 2, 1, 0), (7, 3, 1, 0), (7, 4, 1, 0), (7, 5, 1, 0), (7, 6, 1, 0), (7, 0, 2, 0), (7, 1, 2, 0), (7, 2, 2, 0), (7, 3, 2, 0), (7, 4, 2, 0), (7, 5, 2, 0), (7, 6, 2, 0), (7, 0, 3, 0), (7, 1, 3, 0), (7, 2, 3, 0), (7, 3, 3, 0), (7, 4, 3, 0), (7, 5, 3, 0), (7, 6, 3, 0)] */
v_mul_f32 v[vgprValuC+8], s[sgprAlpha], v[vgprValuC+8] // *= alpha
v_mul_f32 v[vgprValuC+11], s[sgprAlpha], v[vgprValuC+11] // *= alpha
v_mul_f32 v[vgprValuC+14], s[sgprAlpha], v[vgprValuC+14] // *= alpha
v_mul_f32 v[vgprValuC+17], s[sgprAlpha], v[vgprValuC+17] // *= alpha
v_mul_f32 v[vgprValuC+20], s[sgprAlpha], v[vgprValuC+20] // *= alpha
v_mul_f32 v[vgprValuC+23], s[sgprAlpha], v[vgprValuC+23] // *= alpha
v_mul_f32 v[vgprValuC+26], s[sgprAlpha], v[vgprValuC+26] // *= alpha
v_mul_f32 v[vgprValuC+29], s[sgprAlpha], v[vgprValuC+29] // *= alpha
v_mul_f32 v[vgprValuC+32], s[sgprAlpha], v[vgprValuC+32] // *= alpha
v_mul_f32 v[vgprValuC+35], s[sgprAlpha], v[vgprValuC+35] // *= alpha
v_mul_f32 v[vgprValuC+38], s[sgprAlpha], v[vgprValuC+38] // *= alpha
v_mul_f32 v[vgprValuC+41], s[sgprAlpha], v[vgprValuC+41] // *= alpha
v_mul_f32 v[vgprValuC+44], s[sgprAlpha], v[vgprValuC+44] // *= alpha
v_mul_f32 v[vgprValuC+47], s[sgprAlpha], v[vgprValuC+47] // *= alpha
v_mul_f32 v[vgprValuC+50], s[sgprAlpha], v[vgprValuC+50] // *= alpha
v_mul_f32 v[vgprValuC+53], s[sgprAlpha], v[vgprValuC+53] // *= alpha
v_mul_f32 v[vgprValuC+56], s[sgprAlpha], v[vgprValuC+56] // *= alpha
v_mul_f32 v[vgprValuC+59], s[sgprAlpha], v[vgprValuC+59] // *= alpha
v_mul_f32 v[vgprValuC+62], s[sgprAlpha], v[vgprValuC+62] // *= alpha
v_mul_f32 v[vgprValuC+65], s[sgprAlpha], v[vgprValuC+65] // *= alpha
v_mul_f32 v[vgprValuC+68], s[sgprAlpha], v[vgprValuC+68] // *= alpha
v_mul_f32 v[vgprValuC+71], s[sgprAlpha], v[vgprValuC+71] // *= alpha
v_mul_f32 v[vgprValuC+74], s[sgprAlpha], v[vgprValuC+74] // *= alpha
v_mul_f32 v[vgprValuC+77], s[sgprAlpha], v[vgprValuC+77] // *= alpha
v_mul_f32 v[vgprValuC+80], s[sgprAlpha], v[vgprValuC+80] // *= alpha
v_mul_f32 v[vgprValuC+83], s[sgprAlpha], v[vgprValuC+83] // *= alpha
v_mul_f32 v[vgprValuC+86], s[sgprAlpha], v[vgprValuC+86] // *= alpha
v_mul_f32 v[vgprValuC+89], s[sgprAlpha], v[vgprValuC+89] // *= alpha
v_mul_f32 v[vgprValuC+92], s[sgprAlpha], v[vgprValuC+92] // *= alpha
v_mul_f32 v[vgprValuC+95], s[sgprAlpha], v[vgprValuC+95] // *= alpha
v_mul_f32 v[vgprValuC+98], s[sgprAlpha], v[vgprValuC+98] // *= alpha
v_mul_f32 v[vgprValuC+101], s[sgprAlpha], v[vgprValuC+101] // *= alpha
v_mul_f32 v[vgprValuC+104], s[sgprAlpha], v[vgprValuC+104] // *= alpha
v_mul_f32 v[vgprValuC+107], s[sgprAlpha], v[vgprValuC+107] // *= alpha
v_mul_f32 v[vgprValuC+110], s[sgprAlpha], v[vgprValuC+110] // *= alpha
v_mul_f32 v[vgprValuC+113], s[sgprAlpha], v[vgprValuC+113] // *= alpha
v_mul_f32 v[vgprValuC+116], s[sgprAlpha], v[vgprValuC+116] // *= alpha
v_mul_f32 v[vgprValuC+119], s[sgprAlpha], v[vgprValuC+119] // *= alpha
v_mul_f32 v[vgprValuC+122], s[sgprAlpha], v[vgprValuC+122] // *= alpha
v_mul_f32 v[vgprValuC+125], s[sgprAlpha], v[vgprValuC+125] // *= alpha
v_mul_f32 v[vgprValuC+128], s[sgprAlpha], v[vgprValuC+128] // *= alpha
v_mul_f32 v[vgprValuC+131], s[sgprAlpha], v[vgprValuC+131] // *= alpha
v_mul_f32 v[vgprValuC+134], s[sgprAlpha], v[vgprValuC+134] // *= alpha
v_mul_f32 v[vgprValuC+137], s[sgprAlpha], v[vgprValuC+137] // *= alpha
v_mul_f32 v[vgprValuC+140], s[sgprAlpha], v[vgprValuC+140] // *= alpha
v_mul_f32 v[vgprValuC+143], s[sgprAlpha], v[vgprValuC+143] // *= alpha
v_mul_f32 v[vgprValuC+146], s[sgprAlpha], v[vgprValuC+146] // *= alpha
v_mul_f32 v[vgprValuC+149], s[sgprAlpha], v[vgprValuC+149] // *= alpha
v_mul_f32 v[vgprValuC+152], s[sgprAlpha], v[vgprValuC+152] // *= alpha
v_mul_f32 v[vgprValuC+155], s[sgprAlpha], v[vgprValuC+155] // *= alpha
v_mul_f32 v[vgprValuC+158], s[sgprAlpha], v[vgprValuC+158] // *= alpha
v_mul_f32 v[vgprValuC+161], s[sgprAlpha], v[vgprValuC+161] // *= alpha
v_mul_f32 v[vgprValuC+164], s[sgprAlpha], v[vgprValuC+164] // *= alpha
v_mul_f32 v[vgprValuC+167], s[sgprAlpha], v[vgprValuC+167] // *= alpha
v_mul_f32 v[vgprValuC+170], s[sgprAlpha], v[vgprValuC+170] // *= alpha
v_mul_f32 v[vgprValuC+173], s[sgprAlpha], v[vgprValuC+173] // *= alpha
v_mul_f32 v[vgprValuC+176], s[sgprAlpha], v[vgprValuC+176] // *= alpha
v_mul_f32 v[vgprValuC+179], s[sgprAlpha], v[vgprValuC+179] // *= alpha
v_mul_f32 v[vgprValuC+182], s[sgprAlpha], v[vgprValuC+182] // *= alpha
v_mul_f32 v[vgprValuC+185], s[sgprAlpha], v[vgprValuC+185] // *= alpha
v_mul_f32 v[vgprValuC+188], s[sgprAlpha], v[vgprValuC+188] // *= alpha
v_mul_f32 v[vgprValuC+191], s[sgprAlpha], v[vgprValuC+191] // *= alpha
v_mul_f32 v[vgprValuC+194], s[sgprAlpha], v[vgprValuC+194] // *= alpha
v_mul_f32 v[vgprValuC+197], s[sgprAlpha], v[vgprValuC+197] // *= alpha
s_waitcnt vmcnt(0)                                 // wait C

/* apply mask, calc new C and issue writes */
v_fma_mix_f32 v[vgprValuC+8], s[sgprBeta], v7, v[vgprValuC+8], op_sel:[0,0,0] op_sel_hi:[0,1,0] // //C*=beta
v_cvt_f16_f32 v[vgprValuC+8], v[vgprValuC+8]       // convert C to fp16
_buffer_store_b16 v8, v6, s[sgprSrdD:sgprSrdD+3], 0, offen, offset:0,  sc0 sc1 // store D
v_fma_mix_f32 v[vgprValuC+11], s[sgprBeta], v10, v[vgprValuC+11], op_sel:[0,0,0] op_sel_hi:[0,1,0] // //C*=beta
v_cvt_f16_f32 v[vgprValuC+11], v[vgprValuC+11]     // convert C to fp16
_buffer_store_b16 v11, v9, s[sgprSrdD:sgprSrdD+3], 0, offen, offset:0,  sc0 sc1 // store D
v_fma_mix_f32 v[vgprValuC+14], s[sgprBeta], v13, v[vgprValuC+14], op_sel:[0,0,0] op_sel_hi:[0,1,0] // //C*=beta
v_cvt_f16_f32 v[vgprValuC+14], v[vgprValuC+14]     // convert C to fp16
	;; [unrolled: 3-line block ×30, first 2 shown]
_buffer_store_b16 v98, v96, s[sgprSrdD:sgprSrdD+3], 0, offen, offset:0,  sc0 sc1 // store D
v_fma_mix_f32 v[vgprValuC+101], s[sgprBeta], v100, v[vgprValuC+101], op_sel:[0,0,0] op_sel_hi:[0,1,0] // //C*=beta
v_cvt_f16_f32 v[vgprValuC+101], v[vgprValuC+101]   // convert C to fp16
_buffer_store_b16 v101, v99, s[sgprSrdD:sgprSrdD+3], 0, offen, offset:0,  sc0 sc1 // store D
v_fma_mix_f32 v[vgprValuC+104], s[sgprBeta], v103, v[vgprValuC+104], op_sel:[0,0,0] op_sel_hi:[0,1,0] // //C*=beta
v_cvt_f16_f32 v[vgprValuC+104], v[vgprValuC+104]   // convert C to fp16
	;; [unrolled: 3-line block ×33, first 2 shown]
_buffer_store_b16 v197, v195, s[sgprSrdD:sgprSrdD+3], 0, offen, offset:0,  sc0 sc1 // store D
s_nop 0                                            // 1 wait state required when next inst writes vgprs held by previous dwordx4 store inst
s_branch label_GW_End_44                           // jump to end
label_GW_End_44:

label_0049:  /// KernelEnd
s_endpgm                                           // Kernel End

